;; amdgpu-corpus repo=ROCm/rocFFT kind=compiled arch=gfx906 opt=O3
	.text
	.amdgcn_target "amdgcn-amd-amdhsa--gfx906"
	.amdhsa_code_object_version 6
	.protected	bluestein_single_back_len2880_dim1_half_op_CI_CI ; -- Begin function bluestein_single_back_len2880_dim1_half_op_CI_CI
	.globl	bluestein_single_back_len2880_dim1_half_op_CI_CI
	.p2align	8
	.type	bluestein_single_back_len2880_dim1_half_op_CI_CI,@function
bluestein_single_back_len2880_dim1_half_op_CI_CI: ; @bluestein_single_back_len2880_dim1_half_op_CI_CI
; %bb.0:
	s_load_dwordx4 s[16:19], s[4:5], 0x28
	v_mul_u32_u24_e32 v1, 0x2ab, v0
	v_add_u32_sdwa v40, s6, v1 dst_sel:DWORD dst_unused:UNUSED_PAD src0_sel:DWORD src1_sel:WORD_1
	v_mov_b32_e32 v41, 0
	s_waitcnt lgkmcnt(0)
	v_cmp_gt_u64_e32 vcc, s[16:17], v[40:41]
	s_and_saveexec_b64 s[0:1], vcc
	s_cbranch_execz .LBB0_2
; %bb.1:
	s_load_dwordx4 s[8:11], s[4:5], 0x18
	s_load_dwordx4 s[0:3], s[4:5], 0x0
	s_movk_i32 s20, 0x60
	v_mul_lo_u16_sdwa v1, v1, s20 dst_sel:DWORD dst_unused:UNUSED_PAD src0_sel:WORD_1 src1_sel:DWORD
	v_sub_u16_e32 v93, v0, v1
	s_waitcnt lgkmcnt(0)
	s_load_dwordx4 s[12:15], s[8:9], 0x0
	v_or_b32_e32 v83, 0x480, v93
	v_lshlrev_b32_e32 v97, 2, v93
	global_load_dword v96, v97, s[0:1]
	global_load_dword v92, v97, s[0:1] offset:1152
	s_waitcnt lgkmcnt(0)
	v_mad_u64_u32 v[4:5], s[6:7], s12, v93, 0
	v_mad_u64_u32 v[0:1], s[6:7], s14, v40, 0
	v_mov_b32_e32 v2, v5
	s_mul_i32 s8, s13, 0x480
	v_mad_u64_u32 v[5:6], s[6:7], s15, v40, v[1:2]
	v_mad_u64_u32 v[2:3], s[6:7], s13, v93, v[2:3]
	v_mov_b32_e32 v1, v5
	v_lshlrev_b64 v[0:1], 2, v[0:1]
	v_mov_b32_e32 v5, v2
	v_mov_b32_e32 v3, s19
	v_add_co_u32_e32 v2, vcc, s18, v0
	v_addc_co_u32_e32 v3, vcc, v3, v1, vcc
	v_lshlrev_b64 v[0:1], 2, v[4:5]
	s_add_u32 s6, s0, 0x2d00
	v_add_co_u32_e32 v0, vcc, v2, v0
	v_addc_co_u32_e32 v1, vcc, v3, v1, vcc
	s_mul_hi_u32 s14, s12, 0x480
	s_addc_u32 s7, s1, 0
	global_load_dword v8, v[0:1], off
	s_add_i32 s14, s14, s8
	s_mul_i32 s15, s12, 0x480
	v_mad_u64_u32 v[6:7], s[8:9], s12, v83, 0
	v_mov_b32_e32 v4, s14
	v_add_co_u32_e32 v0, vcc, s15, v0
	v_addc_co_u32_e32 v1, vcc, v1, v4, vcc
	v_mov_b32_e32 v5, s14
	v_add_co_u32_e32 v4, vcc, s15, v0
	v_addc_co_u32_e32 v5, vcc, v1, v5, vcc
	global_load_dword v10, v[0:1], off
	global_load_dword v11, v[4:5], off
	global_load_dword v91, v97, s[0:1] offset:2304
	v_mov_b32_e32 v0, v7
	v_mad_u64_u32 v[0:1], s[8:9], s13, v83, v[0:1]
	v_mov_b32_e32 v12, s14
	v_add_co_u32_e32 v4, vcc, s15, v4
	v_mov_b32_e32 v7, v0
	v_lshlrev_b64 v[0:1], 2, v[6:7]
	v_addc_co_u32_e32 v5, vcc, v5, v12, vcc
	v_add_co_u32_e32 v0, vcc, v2, v0
	global_load_dword v89, v97, s[0:1] offset:3456
	v_addc_co_u32_e32 v1, vcc, v3, v1, vcc
	global_load_dword v6, v[4:5], off
	global_load_dword v7, v[0:1], off
	s_mul_i32 s8, s13, 0x900
	s_mul_hi_u32 s16, s12, 0x900
	s_add_i32 s16, s16, s8
	s_mul_i32 s17, s12, 0x900
	v_mov_b32_e32 v0, s16
	v_add_co_u32_e32 v4, vcc, s17, v4
	v_lshlrev_b32_e32 v107, 2, v83
	v_addc_co_u32_e32 v5, vcc, v5, v0, vcc
	v_mov_b32_e32 v9, s1
	global_load_dword v88, v107, s[0:1]
	v_add_co_u32_e32 v13, vcc, s0, v97
	v_addc_co_u32_e32 v9, vcc, 0, v9, vcc
	s_movk_i32 s18, 0x1000
	v_add_co_u32_e32 v0, vcc, s18, v13
	global_load_dword v12, v[4:5], off
	v_addc_co_u32_e32 v1, vcc, 0, v9, vcc
	global_load_dword v84, v[0:1], off offset:1664
	s_load_dwordx4 s[8:11], s[10:11], 0x0
	global_load_dword v76, v97, s[0:1] offset:384
	global_load_dword v75, v97, s[0:1] offset:1536
	;; [unrolled: 1-line block ×5, first 2 shown]
	v_or_b32_e32 v82, 0x900, v93
	v_add_co_u32_e32 v4, vcc, s15, v4
	s_movk_i32 s19, 0x2000
	v_or_b32_e32 v78, 0x180, v93
	v_lshlrev_b32_e32 v111, 2, v82
	v_mov_b32_e32 v79, 0xffffd900
	s_mul_i32 s21, s13, 0xffffd900
	s_sub_i32 s21, s21, s12
	v_or_b32_e32 v68, 0x600, v93
	v_mov_b32_e32 v23, s14
	v_lshlrev_b32_e32 v109, 2, v68
	v_or_b32_e32 v63, 0xa80, v93
	v_mov_b32_e32 v62, 0xffffdd80
	v_or_b32_e32 v61, 0x300, v93
	v_lshlrev_b32_e32 v119, 2, v63
	v_or_b32_e32 v54, 0x780, v93
	v_lshlrev_b32_e32 v121, 2, v54
	v_add_u32_e32 v86, 0x400, v97
	v_add_u32_e32 v106, 0xa00, v97
	;; [unrolled: 1-line block ×5, first 2 shown]
	s_waitcnt vmcnt(14)
	v_lshrrev_b32_e32 v14, 16, v8
	v_mul_f16_sdwa v15, v96, v8 dst_sel:DWORD dst_unused:UNUSED_PAD src0_sel:WORD_1 src1_sel:DWORD
	v_mul_f16_sdwa v16, v96, v14 dst_sel:DWORD dst_unused:UNUSED_PAD src0_sel:WORD_1 src1_sel:DWORD
	v_fma_f16 v14, v96, v14, -v15
	v_fma_f16 v8, v96, v8, v16
	v_pack_b32_f16 v14, v8, v14
	v_add_u32_e32 v98, 0x1c00, v97
	v_add_u32_e32 v74, 0x2000, v97
	;; [unrolled: 1-line block ×7, first 2 shown]
	s_waitcnt vmcnt(13)
	v_lshrrev_b32_e32 v15, 16, v10
	v_mul_f16_sdwa v8, v92, v15 dst_sel:DWORD dst_unused:UNUSED_PAD src0_sel:WORD_1 src1_sel:DWORD
	v_fma_f16 v8, v92, v10, v8
	v_mul_f16_sdwa v10, v92, v10 dst_sel:DWORD dst_unused:UNUSED_PAD src0_sel:WORD_1 src1_sel:DWORD
	v_fma_f16 v10, v92, v15, -v10
	v_pack_b32_f16 v8, v8, v10
	ds_write_b32 v97, v8 offset:1152
	s_waitcnt vmcnt(12)
	v_lshrrev_b32_e32 v8, 16, v11
	s_waitcnt vmcnt(11)
	v_mul_f16_sdwa v10, v91, v8 dst_sel:DWORD dst_unused:UNUSED_PAD src0_sel:WORD_1 src1_sel:DWORD
	v_fma_f16 v10, v91, v11, v10
	v_mul_f16_sdwa v11, v91, v11 dst_sel:DWORD dst_unused:UNUSED_PAD src0_sel:WORD_1 src1_sel:DWORD
	v_fma_f16 v8, v91, v8, -v11
	v_pack_b32_f16 v8, v10, v8
	ds_write_b32 v97, v8 offset:2304
	global_load_dword v73, v97, s[0:1] offset:3840
	global_load_dword v57, v97, s[0:1] offset:3072
	v_add_u32_e32 v102, 0xc00, v97
	v_add_u32_e32 v100, 0x1400, v97
	s_waitcnt vmcnt(11)
	v_lshrrev_b32_e32 v8, 16, v6
	v_mul_f16_sdwa v10, v89, v8 dst_sel:DWORD dst_unused:UNUSED_PAD src0_sel:WORD_1 src1_sel:DWORD
	v_fma_f16 v10, v89, v6, v10
	v_mul_f16_sdwa v6, v89, v6 dst_sel:DWORD dst_unused:UNUSED_PAD src0_sel:WORD_1 src1_sel:DWORD
	v_fma_f16 v6, v89, v8, -v6
	v_pack_b32_f16 v6, v10, v6
	ds_write_b32 v97, v6 offset:3456
	s_waitcnt vmcnt(10)
	v_lshrrev_b32_e32 v6, 16, v7
	v_mov_b32_e32 v10, s14
	v_add_u32_e32 v95, 0x2600, v97
	v_add_u32_e32 v104, 0x200, v97
	v_mov_b32_e32 v157, s3
	s_load_dwordx2 s[4:5], s[4:5], 0x38
	s_waitcnt vmcnt(9)
	v_mul_f16_sdwa v8, v88, v6 dst_sel:DWORD dst_unused:UNUSED_PAD src0_sel:WORD_1 src1_sel:DWORD
	v_fma_f16 v8, v88, v7, v8
	v_mul_f16_sdwa v7, v88, v7 dst_sel:DWORD dst_unused:UNUSED_PAD src0_sel:WORD_1 src1_sel:DWORD
	v_fma_f16 v6, v88, v6, -v7
	v_pack_b32_f16 v6, v8, v6
	ds_write_b32 v97, v6 offset:4608
	v_mov_b32_e32 v8, s14
	v_addc_co_u32_e32 v5, vcc, v5, v8, vcc
	s_waitcnt vmcnt(8)
	v_lshrrev_b32_e32 v11, 16, v12
	global_load_dword v70, v[0:1], off offset:896
	global_load_dword v87, v[0:1], off offset:3968
	;; [unrolled: 1-line block ×6, first 2 shown]
	s_waitcnt vmcnt(13)
	v_mul_f16_sdwa v6, v84, v11 dst_sel:DWORD dst_unused:UNUSED_PAD src0_sel:WORD_1 src1_sel:DWORD
	v_fma_f16 v15, v84, v12, v6
	v_mad_u64_u32 v[6:7], s[22:23], s12, v82, 0
	global_load_dword v16, v[4:5], off
	v_add_co_u32_e32 v4, vcc, s15, v4
	v_mad_u64_u32 v[7:8], s[22:23], s13, v82, v[7:8]
	v_addc_co_u32_e32 v5, vcc, v5, v10, vcc
	v_lshlrev_b64 v[6:7], 2, v[6:7]
	global_load_dword v17, v[4:5], off
	v_add_co_u32_e32 v6, vcc, v2, v6
	v_addc_co_u32_e32 v7, vcc, v3, v7, vcc
	global_load_dword v18, v[6:7], off
	v_mov_b32_e32 v6, s16
	v_add_co_u32_e32 v4, vcc, s17, v4
	v_addc_co_u32_e32 v5, vcc, v5, v6, vcc
	v_add_co_u32_e32 v6, vcc, s19, v13
	v_addc_co_u32_e32 v7, vcc, 0, v9, vcc
	v_mad_u64_u32 v[8:9], s[22:23], s12, v78, 0
	global_load_dword v85, v111, s[0:1]
	global_load_dword v71, v109, s[0:1]
	global_load_dword v19, v[4:5], off
	v_mad_u64_u32 v[4:5], s[22:23], s12, v79, v[4:5]
	v_mad_u64_u32 v[9:10], s[22:23], s13, v78, v[9:10]
	global_load_dword v81, v[6:7], off offset:2176
	global_load_dword v66, v[6:7], off offset:256
	v_add_u32_e32 v5, s21, v5
	global_load_dword v13, v[4:5], off
	v_lshlrev_b64 v[8:9], 2, v[8:9]
	v_mov_b32_e32 v10, s14
	v_add_co_u32_e32 v8, vcc, v2, v8
	v_addc_co_u32_e32 v9, vcc, v3, v9, vcc
	global_load_dword v20, v[8:9], off
	v_mov_b32_e32 v8, s16
	v_add_co_u32_e32 v4, vcc, s17, v4
	v_addc_co_u32_e32 v5, vcc, v5, v8, vcc
	v_mad_u64_u32 v[8:9], s[22:23], s12, v68, 0
	global_load_dword v21, v[4:5], off
	v_add_co_u32_e32 v4, vcc, s15, v4
	v_addc_co_u32_e32 v5, vcc, v5, v10, vcc
	v_mad_u64_u32 v[9:10], s[22:23], s13, v68, v[9:10]
	global_load_dword v22, v[4:5], off
	v_add_co_u32_e32 v4, vcc, s15, v4
	v_addc_co_u32_e32 v5, vcc, v5, v23, vcc
	v_lshlrev_b64 v[8:9], 2, v[8:9]
	global_load_dword v10, v[4:5], off
	v_add_co_u32_e32 v8, vcc, v2, v8
	v_addc_co_u32_e32 v9, vcc, v3, v9, vcc
	global_load_dword v8, v[8:9], off
	v_mov_b32_e32 v9, s16
	v_add_co_u32_e32 v4, vcc, s17, v4
	v_addc_co_u32_e32 v5, vcc, v5, v9, vcc
	global_load_dword v9, v[4:5], off
	v_add_co_u32_e32 v4, vcc, s15, v4
	v_addc_co_u32_e32 v5, vcc, v5, v23, vcc
	global_load_dword v23, v[4:5], off
	v_mul_f16_sdwa v12, v84, v12 dst_sel:DWORD dst_unused:UNUSED_PAD src0_sel:WORD_1 src1_sel:DWORD
	v_fma_f16 v11, v84, v11, -v12
	v_pack_b32_f16 v11, v15, v11
	ds_write_b32 v97, v11 offset:5760
	s_waitcnt vmcnt(15)
	v_lshrrev_b32_e32 v11, 16, v16
	v_mul_f16_sdwa v12, v90, v11 dst_sel:DWORD dst_unused:UNUSED_PAD src0_sel:WORD_1 src1_sel:DWORD
	v_mul_f16_sdwa v15, v90, v16 dst_sel:DWORD dst_unused:UNUSED_PAD src0_sel:WORD_1 src1_sel:DWORD
	v_fma_f16 v12, v90, v16, v12
	v_fma_f16 v11, v90, v11, -v15
	v_pack_b32_f16 v11, v12, v11
	ds_write_b32 v97, v11 offset:6912
	s_waitcnt vmcnt(14)
	v_lshrrev_b32_e32 v11, 16, v17
	v_mul_f16_sdwa v12, v87, v11 dst_sel:DWORD dst_unused:UNUSED_PAD src0_sel:WORD_1 src1_sel:DWORD
	v_mul_f16_sdwa v15, v87, v17 dst_sel:DWORD dst_unused:UNUSED_PAD src0_sel:WORD_1 src1_sel:DWORD
	v_fma_f16 v12, v87, v17, v12
	v_fma_f16 v11, v87, v11, -v15
	v_pack_b32_f16 v11, v12, v11
	ds_write_b32 v97, v11 offset:8064
	s_waitcnt vmcnt(13)
	v_lshrrev_b32_e32 v11, 16, v18
	v_add_co_u32_e32 v4, vcc, s15, v4
	s_mul_i32 s21, s13, 0xffffdd80
	s_sub_i32 s21, s21, s12
	s_waitcnt vmcnt(12)
	v_mul_f16_sdwa v12, v85, v11 dst_sel:DWORD dst_unused:UNUSED_PAD src0_sel:WORD_1 src1_sel:DWORD
	v_mul_f16_sdwa v15, v85, v18 dst_sel:DWORD dst_unused:UNUSED_PAD src0_sel:WORD_1 src1_sel:DWORD
	v_fma_f16 v12, v85, v18, v12
	v_fma_f16 v11, v85, v11, -v15
	v_pack_b32_f16 v11, v12, v11
	ds_write_b32 v97, v11 offset:9216
	s_waitcnt vmcnt(10)
	v_lshrrev_b32_e32 v11, 16, v19
	s_waitcnt vmcnt(9)
	v_mul_f16_sdwa v12, v81, v11 dst_sel:DWORD dst_unused:UNUSED_PAD src0_sel:WORD_1 src1_sel:DWORD
	v_mul_f16_sdwa v15, v81, v19 dst_sel:DWORD dst_unused:UNUSED_PAD src0_sel:WORD_1 src1_sel:DWORD
	v_fma_f16 v12, v81, v19, v12
	v_fma_f16 v11, v81, v11, -v15
	v_pack_b32_f16 v11, v12, v11
	global_load_dword v50, v[6:7], off offset:2944
	global_load_dword v51, v[6:7], off offset:1792
	ds_write_b32 v97, v11 offset:10368
	s_waitcnt vmcnt(9)
	v_lshrrev_b32_e32 v11, 16, v13
	v_mul_f16_sdwa v12, v76, v11 dst_sel:DWORD dst_unused:UNUSED_PAD src0_sel:WORD_1 src1_sel:DWORD
	v_fma_f16 v12, v76, v13, v12
	v_mul_f16_sdwa v13, v76, v13 dst_sel:DWORD dst_unused:UNUSED_PAD src0_sel:WORD_1 src1_sel:DWORD
	v_fma_f16 v11, v76, v11, -v13
	v_pack_b32_f16 v11, v12, v11
	ds_write2_b32 v97, v14, v11 offset1:96
	s_waitcnt vmcnt(8)
	v_lshrrev_b32_e32 v11, 16, v20
	v_mul_f16_sdwa v12, v75, v11 dst_sel:DWORD dst_unused:UNUSED_PAD src0_sel:WORD_1 src1_sel:DWORD
	v_mul_f16_sdwa v13, v75, v20 dst_sel:DWORD dst_unused:UNUSED_PAD src0_sel:WORD_1 src1_sel:DWORD
	v_fma_f16 v12, v75, v20, v12
	v_fma_f16 v11, v75, v11, -v13
	v_pack_b32_f16 v11, v12, v11
	s_waitcnt vmcnt(7)
	v_lshrrev_b32_e32 v12, 16, v21
	v_mul_f16_sdwa v13, v72, v12 dst_sel:DWORD dst_unused:UNUSED_PAD src0_sel:WORD_1 src1_sel:DWORD
	v_mul_f16_sdwa v14, v72, v21 dst_sel:DWORD dst_unused:UNUSED_PAD src0_sel:WORD_1 src1_sel:DWORD
	v_fma_f16 v13, v72, v21, v13
	v_fma_f16 v12, v72, v12, -v14
	v_pack_b32_f16 v12, v13, v12
	;; [unrolled: 7-line block ×3, first 2 shown]
	s_waitcnt vmcnt(5)
	v_lshrrev_b32_e32 v14, 16, v10
	global_load_dword v59, v[0:1], off offset:128
	v_mul_f16_sdwa v0, v70, v14 dst_sel:DWORD dst_unused:UNUSED_PAD src0_sel:WORD_1 src1_sel:DWORD
	v_mul_f16_sdwa v1, v70, v10 dst_sel:DWORD dst_unused:UNUSED_PAD src0_sel:WORD_1 src1_sel:DWORD
	v_fma_f16 v0, v70, v10, v0
	v_fma_f16 v1, v70, v14, -v1
	v_pack_b32_f16 v10, v0, v1
	s_waitcnt vmcnt(5)
	v_lshrrev_b32_e32 v0, 16, v8
	v_mul_f16_sdwa v1, v71, v0 dst_sel:DWORD dst_unused:UNUSED_PAD src0_sel:WORD_1 src1_sel:DWORD
	v_fma_f16 v1, v71, v8, v1
	v_mul_f16_sdwa v8, v71, v8 dst_sel:DWORD dst_unused:UNUSED_PAD src0_sel:WORD_1 src1_sel:DWORD
	v_fma_f16 v0, v71, v0, -v8
	v_pack_b32_f16 v14, v1, v0
	s_waitcnt vmcnt(4)
	v_lshrrev_b32_e32 v0, 16, v9
	v_mul_f16_sdwa v1, v65, v0 dst_sel:DWORD dst_unused:UNUSED_PAD src0_sel:WORD_1 src1_sel:DWORD
	v_mul_f16_sdwa v8, v65, v9 dst_sel:DWORD dst_unused:UNUSED_PAD src0_sel:WORD_1 src1_sel:DWORD
	v_fma_f16 v1, v65, v9, v1
	v_fma_f16 v0, v65, v0, -v8
	v_pack_b32_f16 v15, v1, v0
	v_mad_u64_u32 v[0:1], s[22:23], s12, v63, 0
	v_mov_b32_e32 v8, s14
	v_addc_co_u32_e32 v5, vcc, v5, v8, vcc
	v_mad_u64_u32 v[8:9], s[22:23], s13, v63, v[1:2]
	s_waitcnt vmcnt(3)
	v_lshrrev_b32_e32 v16, 16, v23
	v_mul_f16_sdwa v1, v66, v16 dst_sel:DWORD dst_unused:UNUSED_PAD src0_sel:WORD_1 src1_sel:DWORD
	global_load_dword v17, v[4:5], off
	global_load_dword v67, v[6:7], off offset:1408
	global_load_dword v53, v[6:7], off offset:640
	v_fma_f16 v7, v66, v23, v1
	v_mov_b32_e32 v1, v8
	v_lshlrev_b64 v[0:1], 2, v[0:1]
	global_load_dword v64, v119, s[0:1]
	global_load_dword v56, v121, s[0:1]
	v_add_co_u32_e32 v0, vcc, v2, v0
	v_addc_co_u32_e32 v1, vcc, v3, v1, vcc
	global_load_dword v8, v[0:1], off
	v_mad_u64_u32 v[0:1], s[22:23], s12, v62, v[4:5]
	v_mad_u64_u32 v[4:5], s[22:23], s12, v61, 0
	v_add_u32_e32 v1, s21, v1
	global_load_dword v18, v[0:1], off
	v_mad_u64_u32 v[5:6], s[22:23], s13, v61, v[5:6]
	v_mov_b32_e32 v19, s14
	v_add_co_u32_e32 v0, vcc, s15, v0
	v_addc_co_u32_e32 v1, vcc, v1, v19, vcc
	global_load_dword v19, v[0:1], off
	v_lshlrev_b64 v[4:5], 2, v[4:5]
	v_mul_f16_sdwa v9, v66, v23 dst_sel:DWORD dst_unused:UNUSED_PAD src0_sel:WORD_1 src1_sel:DWORD
	v_add_co_u32_e32 v4, vcc, v2, v4
	v_addc_co_u32_e32 v5, vcc, v3, v5, vcc
	v_fma_f16 v9, v66, v16, -v9
	global_load_dword v16, v[4:5], off
	v_mov_b32_e32 v4, s16
	v_add_co_u32_e32 v0, vcc, s17, v0
	v_addc_co_u32_e32 v1, vcc, v1, v4, vcc
	global_load_dword v20, v[0:1], off
	v_mad_u64_u32 v[4:5], s[22:23], s12, v54, 0
	v_mov_b32_e32 v6, s14
	v_add_co_u32_e32 v0, vcc, s15, v0
	v_addc_co_u32_e32 v1, vcc, v1, v6, vcc
	global_load_dword v21, v[0:1], off
	v_mad_u64_u32 v[5:6], s[12:13], s13, v54, v[5:6]
	v_mov_b32_e32 v22, s14
	v_add_co_u32_e32 v0, vcc, s15, v0
	v_addc_co_u32_e32 v1, vcc, v1, v22, vcc
	global_load_dword v6, v[0:1], off
	v_lshlrev_b64 v[4:5], 2, v[4:5]
	s_movk_i32 s13, 0x3b9c
	v_add_co_u32_e32 v2, vcc, v2, v4
	v_addc_co_u32_e32 v3, vcc, v3, v5, vcc
	global_load_dword v2, v[2:3], off
	v_mov_b32_e32 v4, s16
	v_add_co_u32_e32 v0, vcc, s17, v0
	v_addc_co_u32_e32 v1, vcc, v1, v4, vcc
	global_load_dword v4, v[0:1], off
	v_pack_b32_f16 v3, v7, v9
	v_mov_b32_e32 v9, s14
	v_add_co_u32_e32 v0, vcc, s15, v0
	v_addc_co_u32_e32 v1, vcc, v1, v9, vcc
	global_load_dword v9, v[0:1], off
	v_add_co_u32_e32 v0, vcc, s15, v0
	v_addc_co_u32_e32 v1, vcc, v1, v22, vcc
	global_load_dword v0, v[0:1], off
	s_waitcnt vmcnt(15)
	v_lshrrev_b32_e32 v5, 16, v17
	s_waitcnt vmcnt(14)
	v_mul_f16_sdwa v7, v67, v5 dst_sel:DWORD dst_unused:UNUSED_PAD src0_sel:WORD_1 src1_sel:DWORD
	v_fma_f16 v7, v67, v17, v7
	v_mul_f16_sdwa v17, v67, v17 dst_sel:DWORD dst_unused:UNUSED_PAD src0_sel:WORD_1 src1_sel:DWORD
	v_fma_f16 v1, v67, v5, -v17
	v_pack_b32_f16 v1, v7, v1
	s_mov_b32 s15, 0xbb9c
	s_mov_b32 s16, 0xb8b4
	s_movk_i32 s12, 0x38b4
	s_movk_i32 s14, 0x34f2
	s_waitcnt vmcnt(10)
	v_lshrrev_b32_e32 v5, 16, v8
	v_mul_f16_sdwa v7, v64, v5 dst_sel:DWORD dst_unused:UNUSED_PAD src0_sel:WORD_1 src1_sel:DWORD
	v_fma_f16 v7, v64, v8, v7
	v_mul_f16_sdwa v8, v64, v8 dst_sel:DWORD dst_unused:UNUSED_PAD src0_sel:WORD_1 src1_sel:DWORD
	v_fma_f16 v5, v64, v5, -v8
	v_pack_b32_f16 v5, v7, v5
	s_waitcnt vmcnt(9)
	v_lshrrev_b32_e32 v7, 16, v18
	v_mul_f16_sdwa v8, v60, v7 dst_sel:DWORD dst_unused:UNUSED_PAD src0_sel:WORD_1 src1_sel:DWORD
	v_mul_f16_sdwa v17, v60, v18 dst_sel:DWORD dst_unused:UNUSED_PAD src0_sel:WORD_1 src1_sel:DWORD
	v_fma_f16 v8, v60, v18, v8
	v_fma_f16 v7, v60, v7, -v17
	v_pack_b32_f16 v7, v8, v7
	ds_write_b32 v97, v7 offset:768
	s_movk_i32 s17, 0x3a79
	s_waitcnt vmcnt(8)
	v_lshrrev_b32_e32 v7, 16, v19
	v_mul_f16_sdwa v8, v58, v7 dst_sel:DWORD dst_unused:UNUSED_PAD src0_sel:WORD_1 src1_sel:DWORD
	v_mul_f16_sdwa v17, v58, v19 dst_sel:DWORD dst_unused:UNUSED_PAD src0_sel:WORD_1 src1_sel:DWORD
	v_fma_f16 v8, v58, v19, v8
	v_fma_f16 v7, v58, v7, -v17
	v_pack_b32_f16 v7, v8, v7
	ds_write2_b32 v86, v11, v7 offset0:128 offset1:224
	s_movk_i32 s0, 0xc0
	s_waitcnt vmcnt(7)
	v_lshrrev_b32_e32 v7, 16, v16
	v_mul_f16_sdwa v8, v57, v7 dst_sel:DWORD dst_unused:UNUSED_PAD src0_sel:WORD_1 src1_sel:DWORD
	v_mul_f16_sdwa v11, v57, v16 dst_sel:DWORD dst_unused:UNUSED_PAD src0_sel:WORD_1 src1_sel:DWORD
	v_fma_f16 v8, v57, v16, v8
	v_fma_f16 v7, v57, v7, -v11
	v_pack_b32_f16 v7, v8, v7
	ds_write2_b32 v106, v12, v7 offset0:32 offset1:128
	s_waitcnt vmcnt(6)
	v_lshrrev_b32_e32 v7, 16, v20
	v_mul_f16_sdwa v8, v59, v7 dst_sel:DWORD dst_unused:UNUSED_PAD src0_sel:WORD_1 src1_sel:DWORD
	v_mul_f16_sdwa v11, v59, v20 dst_sel:DWORD dst_unused:UNUSED_PAD src0_sel:WORD_1 src1_sel:DWORD
	v_fma_f16 v8, v59, v20, v8
	v_fma_f16 v7, v59, v7, -v11
	v_pack_b32_f16 v7, v8, v7
	ds_write2_b32 v80, v13, v7 offset0:64 offset1:160
	;; [unrolled: 8-line block ×3, first 2 shown]
	s_mov_b32 s22, 0xcccd
	s_waitcnt vmcnt(4)
	v_lshrrev_b32_e32 v7, 16, v6
	v_mul_f16_sdwa v8, v52, v7 dst_sel:DWORD dst_unused:UNUSED_PAD src0_sel:WORD_1 src1_sel:DWORD
	v_fma_f16 v8, v52, v6, v8
	v_mul_f16_sdwa v6, v52, v6 dst_sel:DWORD dst_unused:UNUSED_PAD src0_sel:WORD_1 src1_sel:DWORD
	v_fma_f16 v6, v52, v7, -v6
	v_pack_b32_f16 v6, v8, v6
	ds_write2_b32 v77, v14, v6 offset1:96
	s_waitcnt vmcnt(3)
	v_lshrrev_b32_e32 v6, 16, v2
	v_mul_f16_sdwa v7, v56, v6 dst_sel:DWORD dst_unused:UNUSED_PAD src0_sel:WORD_1 src1_sel:DWORD
	v_fma_f16 v7, v56, v2, v7
	v_mul_f16_sdwa v2, v56, v2 dst_sel:DWORD dst_unused:UNUSED_PAD src0_sel:WORD_1 src1_sel:DWORD
	v_fma_f16 v2, v56, v6, -v2
	v_pack_b32_f16 v2, v7, v2
	ds_write2_b32 v98, v15, v2 offset0:32 offset1:128
	s_waitcnt vmcnt(2)
	v_lshrrev_b32_e32 v2, 16, v4
	v_mul_f16_sdwa v6, v53, v2 dst_sel:DWORD dst_unused:UNUSED_PAD src0_sel:WORD_1 src1_sel:DWORD
	v_fma_f16 v6, v53, v4, v6
	v_mul_f16_sdwa v4, v53, v4 dst_sel:DWORD dst_unused:UNUSED_PAD src0_sel:WORD_1 src1_sel:DWORD
	v_fma_f16 v2, v53, v2, -v4
	v_pack_b32_f16 v2, v6, v2
	ds_write2_b32 v74, v3, v2 offset0:64 offset1:160
	s_waitcnt vmcnt(1)
	v_lshrrev_b32_e32 v2, 16, v9
	v_mul_f16_sdwa v3, v51, v2 dst_sel:DWORD dst_unused:UNUSED_PAD src0_sel:WORD_1 src1_sel:DWORD
	v_mul_f16_sdwa v4, v51, v9 dst_sel:DWORD dst_unused:UNUSED_PAD src0_sel:WORD_1 src1_sel:DWORD
	v_fma_f16 v3, v51, v9, v3
	v_fma_f16 v2, v51, v2, -v4
	v_pack_b32_f16 v2, v3, v2
	ds_write2_b32 v94, v1, v2 offset0:96 offset1:192
	s_waitcnt vmcnt(0)
	v_lshrrev_b32_e32 v1, 16, v0
	v_mul_f16_sdwa v2, v50, v1 dst_sel:DWORD dst_unused:UNUSED_PAD src0_sel:WORD_1 src1_sel:DWORD
	v_fma_f16 v2, v50, v0, v2
	v_mul_f16_sdwa v0, v50, v0 dst_sel:DWORD dst_unused:UNUSED_PAD src0_sel:WORD_1 src1_sel:DWORD
	v_fma_f16 v0, v50, v1, -v0
	v_pack_b32_f16 v0, v2, v0
	ds_write2_b32 v69, v5, v0 offset0:128 offset1:224
	s_waitcnt lgkmcnt(0)
	s_barrier
	ds_read2_b32 v[12:13], v97 offset1:96
	ds_read2_b32 v[10:11], v103 offset0:64 offset1:160
	ds_read2_b32 v[14:15], v101 offset0:128 offset1:224
	ds_read2_b32 v[16:17], v94 offset1:96
	ds_read2_b32 v[18:19], v99 offset0:64 offset1:160
	s_waitcnt lgkmcnt(4)
	v_lshrrev_b32_e32 v23, 16, v12
	s_waitcnt lgkmcnt(2)
	v_sub_f16_e32 v2, v14, v10
	s_waitcnt lgkmcnt(1)
	v_add_f16_e32 v0, v10, v16
	s_waitcnt lgkmcnt(0)
	v_sub_f16_sdwa v22, v14, v18 dst_sel:DWORD dst_unused:UNUSED_PAD src0_sel:WORD_1 src1_sel:WORD_1
	v_fma_f16 v0, v0, -0.5, v12
	v_sub_f16_sdwa v21, v10, v16 dst_sel:DWORD dst_unused:UNUSED_PAD src0_sel:WORD_1 src1_sel:WORD_1
	v_fma_f16 v1, v22, s15, v0
	v_sub_f16_e32 v3, v18, v16
	v_fma_f16 v0, v22, s13, v0
	v_add_f16_e32 v2, v2, v3
	v_fma_f16 v0, v21, s16, v0
	v_fma_f16 v1, v21, s12, v1
	;; [unrolled: 1-line block ×3, first 2 shown]
	v_add_f16_sdwa v0, v10, v16 dst_sel:DWORD dst_unused:UNUSED_PAD src0_sel:WORD_1 src1_sel:WORD_1
	v_fma_f16 v24, v2, s14, v1
	v_sub_f16_e32 v26, v14, v18
	v_fma_f16 v0, v0, -0.5, v23
	v_sub_f16_sdwa v1, v14, v10 dst_sel:DWORD dst_unused:UNUSED_PAD src0_sel:WORD_1 src1_sel:WORD_1
	v_sub_f16_sdwa v2, v18, v16 dst_sel:DWORD dst_unused:UNUSED_PAD src0_sel:WORD_1 src1_sel:WORD_1
	v_sub_f16_e32 v25, v10, v16
	v_add_f16_e32 v8, v1, v2
	v_fma_f16 v1, v26, s13, v0
	v_fma_f16 v1, v25, s16, v1
	v_fma_f16 v0, v26, s15, v0
	v_fma_f16 v28, v8, s14, v1
	v_fma_f16 v9, v25, s12, v0
	ds_read2_b32 v[0:1], v102 offset1:96
	ds_read2_b32 v[2:3], v100 offset0:64 offset1:160
	ds_read2_b32 v[6:7], v98 offset0:128 offset1:224
	;; [unrolled: 1-line block ×3, first 2 shown]
	v_fma_f16 v27, v8, s14, v9
	ds_read2_b32 v[8:9], v104 offset0:64 offset1:160
	s_waitcnt lgkmcnt(3)
	v_sub_f16_e32 v29, v3, v1
	s_waitcnt lgkmcnt(2)
	v_sub_f16_sdwa v43, v3, v7 dst_sel:DWORD dst_unused:UNUSED_PAD src0_sel:WORD_1 src1_sel:WORD_1
	s_waitcnt lgkmcnt(1)
	v_sub_f16_e32 v30, v7, v5
	v_add_f16_e32 v29, v29, v30
	v_add_f16_e32 v30, v1, v5
	s_waitcnt lgkmcnt(0)
	v_fma_f16 v30, v30, -0.5, v9
	v_sub_f16_sdwa v39, v1, v5 dst_sel:DWORD dst_unused:UNUSED_PAD src0_sel:WORD_1 src1_sel:WORD_1
	v_fma_f16 v31, v43, s15, v30
	v_fma_f16 v30, v43, s13, v30
	;; [unrolled: 1-line block ×6, first 2 shown]
	v_sub_f16_sdwa v30, v3, v1 dst_sel:DWORD dst_unused:UNUSED_PAD src0_sel:WORD_1 src1_sel:WORD_1
	v_sub_f16_sdwa v32, v7, v5 dst_sel:DWORD dst_unused:UNUSED_PAD src0_sel:WORD_1 src1_sel:WORD_1
	v_add_f16_e32 v30, v30, v32
	v_lshrrev_b32_e32 v32, 16, v9
	v_add_f16_sdwa v33, v1, v5 dst_sel:DWORD dst_unused:UNUSED_PAD src0_sel:WORD_1 src1_sel:WORD_1
	v_fma_f16 v33, v33, -0.5, v32
	v_sub_f16_e32 v45, v3, v7
	v_sub_f16_e32 v44, v1, v5
	v_fma_f16 v34, v45, s13, v33
	v_fma_f16 v34, v44, s16, v34
	;; [unrolled: 1-line block ×6, first 2 shown]
	v_mul_f16_e32 v33, 0x3b9c, v34
	v_fma_f16 v46, v31, s14, v33
	v_mul_f16_e32 v31, 0xbb9c, v31
	v_fma_f16 v47, v34, s14, v31
	;; [unrolled: 2-line block ×4, first 2 shown]
	v_add_f16_e32 v29, v20, v48
	v_add_f16_e32 v30, v27, v49
	v_pack_b32_f16 v30, v29, v30
	v_add_f16_e32 v29, v24, v46
	v_add_f16_e32 v31, v28, v47
	v_pack_b32_f16 v29, v29, v31
	v_sub_f16_e32 v31, v10, v14
	v_sub_f16_e32 v33, v16, v18
	v_add_f16_e32 v108, v31, v33
	v_sub_f16_sdwa v31, v10, v14 dst_sel:DWORD dst_unused:UNUSED_PAD src0_sel:WORD_1 src1_sel:WORD_1
	v_sub_f16_sdwa v33, v16, v18 dst_sel:DWORD dst_unused:UNUSED_PAD src0_sel:WORD_1 src1_sel:WORD_1
	v_add_f16_e32 v110, v31, v33
	v_sub_f16_e32 v31, v1, v3
	v_sub_f16_e32 v33, v5, v7
	v_add_f16_e32 v113, v31, v33
	v_sub_f16_sdwa v31, v1, v3 dst_sel:DWORD dst_unused:UNUSED_PAD src0_sel:WORD_1 src1_sel:WORD_1
	v_sub_f16_sdwa v33, v5, v7 dst_sel:DWORD dst_unused:UNUSED_PAD src0_sel:WORD_1 src1_sel:WORD_1
	v_add_f16_e32 v114, v31, v33
	v_add_f16_e32 v31, v3, v7
	v_fma_f16 v115, v31, -0.5, v9
	v_add_f16_sdwa v33, v3, v7 dst_sel:DWORD dst_unused:UNUSED_PAD src0_sel:WORD_1 src1_sel:WORD_1
	v_fma_f16 v31, v39, s13, v115
	v_fma_f16 v116, v33, -0.5, v32
	v_fma_f16 v31, v43, s12, v31
	v_fma_f16 v33, v44, s15, v116
	v_fma_f16 v31, v113, s14, v31
	v_fma_f16 v33, v45, s16, v33
	v_fma_f16 v33, v114, s14, v33
	v_mul_f16_e32 v34, 0x3a79, v31
	v_mul_f16_e32 v31, 0xb8b4, v31
	v_fma_f16 v118, v33, s17, v31
	v_add_f16_e32 v31, v12, v10
	v_add_f16_e32 v31, v31, v14
	;; [unrolled: 1-line block ×5, first 2 shown]
	v_fma_f16 v12, v31, -0.5, v12
	v_fma_f16 v31, v21, s13, v12
	v_fma_f16 v31, v22, s12, v31
	v_add_f16_sdwa v10, v23, v10 dst_sel:DWORD dst_unused:UNUSED_PAD src0_sel:DWORD src1_sel:WORD_1
	v_fma_f16 v122, v108, s14, v31
	v_add_f16_sdwa v31, v14, v18 dst_sel:DWORD dst_unused:UNUSED_PAD src0_sel:WORD_1 src1_sel:WORD_1
	v_add_f16_sdwa v10, v10, v14 dst_sel:DWORD dst_unused:UNUSED_PAD src0_sel:DWORD src1_sel:WORD_1
	v_fma_f16 v123, v31, -0.5, v23
	v_add_f16_sdwa v10, v10, v18 dst_sel:DWORD dst_unused:UNUSED_PAD src0_sel:DWORD src1_sel:WORD_1
	v_add_f16_sdwa v14, v10, v16 dst_sel:DWORD dst_unused:UNUSED_PAD src0_sel:DWORD src1_sel:WORD_1
	v_fma_f16 v10, v25, s15, v123
	v_add_f16_e32 v9, v9, v1
	v_add_f16_sdwa v1, v32, v1 dst_sel:DWORD dst_unused:UNUSED_PAD src0_sel:DWORD src1_sel:WORD_1
	v_fma_f16 v10, v26, s16, v10
	v_add_f16_e32 v9, v9, v3
	v_add_f16_sdwa v1, v1, v3 dst_sel:DWORD dst_unused:UNUSED_PAD src0_sel:DWORD src1_sel:WORD_1
	v_fma_f16 v117, v33, s12, v34
	v_fma_f16 v16, v110, s14, v10
	v_add_f16_e32 v9, v9, v7
	v_add_f16_sdwa v1, v1, v7 dst_sel:DWORD dst_unused:UNUSED_PAD src0_sel:DWORD src1_sel:WORD_1
	v_add_f16_e32 v18, v9, v5
	v_add_f16_sdwa v1, v1, v5 dst_sel:DWORD dst_unused:UNUSED_PAD src0_sel:DWORD src1_sel:WORD_1
	v_add_f16_e32 v3, v122, v117
	v_add_f16_e32 v5, v16, v118
	v_pack_b32_f16 v10, v3, v5
	v_add_f16_e32 v3, v120, v18
	v_add_f16_e32 v5, v14, v1
	v_pack_b32_f16 v9, v3, v5
	v_mul_lo_u16_e32 v3, 10, v93
	v_lshlrev_b32_e32 v112, 2, v3
	v_sub_f16_e32 v3, v122, v117
	v_sub_f16_e32 v7, v16, v118
	ds_read2_b32 v[31:32], v86 offset0:128 offset1:224
	ds_read2_b32 v[33:34], v80 offset0:64 offset1:160
	ds_read2_b32 v[35:36], v77 offset1:96
	ds_read2_b32 v[37:38], v74 offset0:64 offset1:160
	ds_read2_b32 v[41:42], v69 offset0:128 offset1:224
	s_waitcnt lgkmcnt(0)
	s_barrier
	ds_write2_b64 v112, v[9:10], v[29:30] offset1:1
	v_pack_b32_f16 v9, v3, v7
	v_fma_f16 v7, v39, s15, v115
	v_fma_f16 v3, v21, s15, v12
	;; [unrolled: 1-line block ×4, first 2 shown]
	v_sub_f16_e32 v5, v24, v46
	v_sub_f16_e32 v10, v28, v47
	v_fma_f16 v7, v113, s14, v7
	v_fma_f16 v12, v45, s12, v12
	v_pack_b32_f16 v10, v5, v10
	v_fma_f16 v5, v25, s13, v123
	v_fma_f16 v12, v114, s14, v12
	v_mul_f16_e32 v16, 0xba79, v7
	v_fma_f16 v3, v22, s16, v3
	v_fma_f16 v5, v26, s12, v5
	;; [unrolled: 1-line block ×3, first 2 shown]
	v_mul_f16_e32 v12, 0xba79, v12
	v_fma_f16 v3, v108, s14, v3
	v_fma_f16 v5, v110, s14, v5
	;; [unrolled: 1-line block ×3, first 2 shown]
	v_sub_f16_e32 v12, v120, v18
	v_sub_f16_e32 v1, v14, v1
	v_add_f16_e32 v14, v3, v16
	v_add_f16_e32 v18, v5, v7
	v_pack_b32_f16 v21, v14, v18
	v_pack_b32_f16 v22, v12, v1
	ds_write2_b64 v112, v[21:22], v[9:10] offset0:2 offset1:3
	v_add_f16_e32 v9, v11, v17
	v_fma_f16 v12, v9, -0.5, v13
	v_lshrrev_b32_e32 v14, 16, v13
	v_add_f16_e32 v9, v13, v11
	v_add_f16_e32 v9, v9, v15
	v_add_f16_sdwa v10, v14, v11 dst_sel:DWORD dst_unused:UNUSED_PAD src0_sel:DWORD src1_sel:WORD_1
	v_add_f16_sdwa v10, v10, v15 dst_sel:DWORD dst_unused:UNUSED_PAD src0_sel:DWORD src1_sel:WORD_1
	v_add_f16_e32 v9, v9, v19
	v_add_f16_e32 v1, v15, v19
	v_add_f16_sdwa v10, v10, v19 dst_sel:DWORD dst_unused:UNUSED_PAD src0_sel:DWORD src1_sel:WORD_1
	v_add_f16_e32 v39, v9, v17
	v_sub_f16_e32 v9, v20, v48
	v_sub_f16_e32 v3, v3, v16
	;; [unrolled: 1-line block ×4, first 2 shown]
	v_fma_f16 v1, v1, -0.5, v13
	v_sub_f16_sdwa v13, v15, v19 dst_sel:DWORD dst_unused:UNUSED_PAD src0_sel:WORD_1 src1_sel:WORD_1
	v_sub_f16_e32 v18, v11, v15
	v_sub_f16_e32 v21, v15, v11
	v_add_f16_sdwa v22, v15, v19 dst_sel:DWORD dst_unused:UNUSED_PAD src0_sel:WORD_1 src1_sel:WORD_1
	v_sub_f16_e32 v23, v15, v19
	v_sub_f16_sdwa v24, v11, v15 dst_sel:DWORD dst_unused:UNUSED_PAD src0_sel:WORD_1 src1_sel:WORD_1
	v_sub_f16_sdwa v15, v15, v11 dst_sel:DWORD dst_unused:UNUSED_PAD src0_sel:WORD_1 src1_sel:WORD_1
	;; [unrolled: 1-line block ×3, first 2 shown]
	v_sub_f16_e32 v26, v11, v17
	v_add_f16_sdwa v11, v11, v17 dst_sel:DWORD dst_unused:UNUSED_PAD src0_sel:WORD_1 src1_sel:WORD_1
	v_sub_f16_e32 v28, v17, v19
	v_sub_f16_e32 v29, v19, v17
	v_sub_f16_sdwa v30, v17, v19 dst_sel:DWORD dst_unused:UNUSED_PAD src0_sel:WORD_1 src1_sel:WORD_1
	v_sub_f16_sdwa v19, v19, v17 dst_sel:DWORD dst_unused:UNUSED_PAD src0_sel:WORD_1 src1_sel:WORD_1
	v_add_f16_sdwa v17, v10, v17 dst_sel:DWORD dst_unused:UNUSED_PAD src0_sel:DWORD src1_sel:WORD_1
	v_pack_b32_f16 v10, v3, v5
	v_pack_b32_f16 v9, v9, v16
	ds_write_b64 v112, v[9:10] offset:32
	v_fma_f16 v5, v13, s15, v12
	v_fma_f16 v7, v13, s13, v12
	v_fma_f16 v9, v11, -0.5, v14
	v_add_f16_e32 v3, v21, v29
	v_fma_f16 v5, v25, s12, v5
	v_fma_f16 v7, v25, s16, v7
	;; [unrolled: 1-line block ×6, first 2 shown]
	v_add_f16_e32 v7, v15, v19
	v_fma_f16 v10, v26, s16, v10
	v_fma_f16 v9, v26, s12, v9
	;; [unrolled: 1-line block ×4, first 2 shown]
	v_sub_f16_e32 v9, v35, v33
	v_sub_f16_e32 v10, v37, v41
	v_add_f16_e32 v9, v9, v10
	v_add_f16_e32 v10, v33, v41
	v_fma_f16 v10, v10, -0.5, v31
	v_sub_f16_sdwa v19, v35, v37 dst_sel:DWORD dst_unused:UNUSED_PAD src0_sel:WORD_1 src1_sel:WORD_1
	v_sub_f16_sdwa v16, v33, v41 dst_sel:DWORD dst_unused:UNUSED_PAD src0_sel:WORD_1 src1_sel:WORD_1
	v_fma_f16 v11, v19, s15, v10
	v_fma_f16 v10, v19, s13, v10
	;; [unrolled: 1-line block ×6, first 2 shown]
	v_sub_f16_sdwa v10, v35, v33 dst_sel:DWORD dst_unused:UNUSED_PAD src0_sel:WORD_1 src1_sel:WORD_1
	v_sub_f16_sdwa v12, v37, v41 dst_sel:DWORD dst_unused:UNUSED_PAD src0_sel:WORD_1 src1_sel:WORD_1
	v_add_f16_e32 v10, v10, v12
	v_lshrrev_b32_e32 v12, 16, v31
	v_add_f16_sdwa v20, v33, v41 dst_sel:DWORD dst_unused:UNUSED_PAD src0_sel:WORD_1 src1_sel:WORD_1
	v_fma_f16 v20, v20, -0.5, v12
	v_sub_f16_e32 v27, v35, v37
	v_sub_f16_e32 v21, v33, v41
	v_fma_f16 v29, v27, s13, v20
	v_fma_f16 v29, v21, s16, v29
	;; [unrolled: 1-line block ×6, first 2 shown]
	v_mul_f16_e32 v20, 0x3b9c, v29
	v_fma_f16 v20, v11, s14, v20
	v_mul_f16_e32 v11, 0xbb9c, v11
	v_fma_f16 v29, v29, s14, v11
	;; [unrolled: 2-line block ×4, first 2 shown]
	v_add_f16_e32 v9, v3, v43
	v_add_f16_e32 v10, v7, v44
	v_pack_b32_f16 v10, v9, v10
	v_add_f16_e32 v9, v5, v20
	v_add_f16_e32 v11, v15, v29
	v_pack_b32_f16 v9, v9, v11
	v_fma_f16 v14, v22, -0.5, v14
	v_add_f16_e32 v22, v24, v30
	v_sub_f16_e32 v11, v33, v35
	v_sub_f16_e32 v24, v41, v37
	v_add_f16_e32 v18, v18, v28
	v_add_f16_e32 v24, v11, v24
	v_sub_f16_sdwa v11, v33, v35 dst_sel:DWORD dst_unused:UNUSED_PAD src0_sel:WORD_1 src1_sel:WORD_1
	v_sub_f16_sdwa v28, v41, v37 dst_sel:DWORD dst_unused:UNUSED_PAD src0_sel:WORD_1 src1_sel:WORD_1
	v_add_f16_e32 v28, v11, v28
	v_add_f16_e32 v11, v35, v37
	v_fma_f16 v30, v11, -0.5, v31
	v_add_f16_sdwa v45, v35, v37 dst_sel:DWORD dst_unused:UNUSED_PAD src0_sel:WORD_1 src1_sel:WORD_1
	v_fma_f16 v11, v16, s13, v30
	v_fma_f16 v45, v45, -0.5, v12
	v_fma_f16 v11, v19, s12, v11
	v_fma_f16 v46, v21, s15, v45
	;; [unrolled: 1-line block ×5, first 2 shown]
	v_mul_f16_e32 v47, 0x3a79, v11
	v_mul_f16_e32 v11, 0xb8b4, v11
	v_fma_f16 v47, v46, s12, v47
	v_fma_f16 v46, v46, s17, v11
	;; [unrolled: 1-line block ×8, first 2 shown]
	v_add_f16_e32 v11, v31, v33
	v_add_f16_e32 v11, v11, v35
	;; [unrolled: 1-line block ×4, first 2 shown]
	v_add_f16_sdwa v11, v12, v33 dst_sel:DWORD dst_unused:UNUSED_PAD src0_sel:DWORD src1_sel:WORD_1
	v_add_f16_sdwa v11, v11, v35 dst_sel:DWORD dst_unused:UNUSED_PAD src0_sel:DWORD src1_sel:WORD_1
	;; [unrolled: 1-line block ×4, first 2 shown]
	v_add_f16_e32 v11, v48, v47
	v_add_f16_e32 v12, v49, v46
	v_pack_b32_f16 v12, v11, v12
	v_add_f16_e32 v11, v39, v108
	v_add_f16_e32 v31, v17, v33
	v_pack_b32_f16 v11, v11, v31
	v_add_co_u32_e32 v31, vcc, s20, v93
	v_mul_u32_u24_e32 v35, 10, v31
	v_lshlrev_b32_e32 v113, 2, v35
	ds_write2_b64 v113, v[11:12], v[9:10] offset1:1
	v_sub_f16_e32 v9, v48, v47
	v_sub_f16_e32 v5, v5, v20
	;; [unrolled: 1-line block ×4, first 2 shown]
	v_pack_b32_f16 v9, v9, v10
	v_pack_b32_f16 v10, v5, v11
	v_fma_f16 v11, v16, s15, v30
	v_fma_f16 v11, v19, s16, v11
	;; [unrolled: 1-line block ×9, first 2 shown]
	v_mul_f16_e32 v13, 0xba79, v11
	v_fma_f16 v5, v23, s12, v5
	v_fma_f16 v13, v12, s12, v13
	v_mul_f16_e32 v12, 0xba79, v12
	v_fma_f16 v1, v18, s14, v1
	v_fma_f16 v5, v22, s14, v5
	v_fma_f16 v14, v11, s16, v12
	v_sub_f16_e32 v12, v39, v108
	v_sub_f16_e32 v15, v17, v33
	v_add_f16_e32 v11, v1, v13
	v_add_f16_e32 v16, v5, v14
	v_pack_b32_f16 v11, v11, v16
	v_pack_b32_f16 v12, v12, v15
	ds_write2_b64 v113, v[11:12], v[9:10] offset0:2 offset1:3
	v_add_f16_e32 v9, v2, v6
	v_add_f16_e32 v10, v0, v4
	v_fma_f16 v9, v9, -0.5, v8
	v_fma_f16 v10, v10, -0.5, v8
	v_lshrrev_b32_e32 v11, 16, v8
	v_add_f16_e32 v8, v8, v0
	v_add_f16_e32 v8, v8, v2
	v_add_f16_sdwa v12, v11, v0 dst_sel:DWORD dst_unused:UNUSED_PAD src0_sel:DWORD src1_sel:WORD_1
	v_add_f16_sdwa v12, v12, v2 dst_sel:DWORD dst_unused:UNUSED_PAD src0_sel:DWORD src1_sel:WORD_1
	v_sub_f16_sdwa v15, v2, v6 dst_sel:DWORD dst_unused:UNUSED_PAD src0_sel:WORD_1 src1_sel:WORD_1
	v_sub_f16_e32 v16, v0, v2
	v_sub_f16_e32 v17, v2, v0
	v_add_f16_sdwa v18, v2, v6 dst_sel:DWORD dst_unused:UNUSED_PAD src0_sel:WORD_1 src1_sel:WORD_1
	v_sub_f16_e32 v19, v2, v6
	v_sub_f16_sdwa v20, v0, v2 dst_sel:DWORD dst_unused:UNUSED_PAD src0_sel:WORD_1 src1_sel:WORD_1
	v_sub_f16_sdwa v2, v2, v0 dst_sel:DWORD dst_unused:UNUSED_PAD src0_sel:WORD_1 src1_sel:WORD_1
	;; [unrolled: 1-line block ×3, first 2 shown]
	v_sub_f16_e32 v22, v0, v4
	v_add_f16_sdwa v23, v0, v4 dst_sel:DWORD dst_unused:UNUSED_PAD src0_sel:WORD_1 src1_sel:WORD_1
	v_add_f16_e32 v0, v8, v6
	v_add_f16_sdwa v8, v12, v6 dst_sel:DWORD dst_unused:UNUSED_PAD src0_sel:DWORD src1_sel:WORD_1
	v_add_f16_e32 v26, v0, v4
	v_add_f16_e32 v0, v36, v38
	v_sub_f16_e32 v12, v4, v6
	v_sub_f16_e32 v24, v6, v4
	v_sub_f16_sdwa v25, v4, v6 dst_sel:DWORD dst_unused:UNUSED_PAD src0_sel:WORD_1 src1_sel:WORD_1
	v_sub_f16_sdwa v6, v6, v4 dst_sel:DWORD dst_unused:UNUSED_PAD src0_sel:WORD_1 src1_sel:WORD_1
	v_add_f16_sdwa v4, v8, v4 dst_sel:DWORD dst_unused:UNUSED_PAD src0_sel:DWORD src1_sel:WORD_1
	v_fma_f16 v8, v0, -0.5, v32
	v_add_f16_e32 v0, v34, v42
	v_fma_f16 v27, v0, -0.5, v32
	v_add_f16_e32 v0, v32, v34
	v_add_f16_e32 v0, v0, v36
	;; [unrolled: 1-line block ×4, first 2 shown]
	v_sub_f16_e32 v0, v3, v43
	v_sub_f16_e32 v1, v1, v13
	;; [unrolled: 1-line block ×4, first 2 shown]
	v_pack_b32_f16 v1, v1, v5
	v_pack_b32_f16 v0, v0, v3
	ds_write_b64 v113, v[0:1] offset:32
	v_fma_f16 v1, v15, s15, v10
	v_add_f16_e32 v0, v17, v24
	v_fma_f16 v1, v21, s12, v1
	v_fma_f16 v5, v0, s14, v1
	;; [unrolled: 1-line block ×4, first 2 shown]
	v_lshrrev_b32_e32 v28, 16, v32
	v_fma_f16 v7, v0, s14, v1
	v_fma_f16 v1, v23, -0.5, v11
	v_add_f16_sdwa v29, v28, v34 dst_sel:DWORD dst_unused:UNUSED_PAD src0_sel:DWORD src1_sel:WORD_1
	v_add_f16_e32 v0, v2, v6
	v_fma_f16 v2, v19, s13, v1
	v_fma_f16 v1, v19, s15, v1
	v_add_f16_sdwa v29, v29, v36 dst_sel:DWORD dst_unused:UNUSED_PAD src0_sel:DWORD src1_sel:WORD_1
	v_sub_f16_sdwa v30, v36, v38 dst_sel:DWORD dst_unused:UNUSED_PAD src0_sel:WORD_1 src1_sel:WORD_1
	v_sub_f16_e32 v32, v34, v36
	v_sub_f16_e32 v33, v36, v34
	v_add_f16_sdwa v35, v36, v38 dst_sel:DWORD dst_unused:UNUSED_PAD src0_sel:WORD_1 src1_sel:WORD_1
	v_sub_f16_e32 v37, v36, v38
	v_sub_f16_sdwa v39, v34, v36 dst_sel:DWORD dst_unused:UNUSED_PAD src0_sel:WORD_1 src1_sel:WORD_1
	v_sub_f16_sdwa v36, v36, v34 dst_sel:DWORD dst_unused:UNUSED_PAD src0_sel:WORD_1 src1_sel:WORD_1
	;; [unrolled: 1-line block ×3, first 2 shown]
	v_sub_f16_e32 v45, v34, v42
	v_add_f16_sdwa v34, v34, v42 dst_sel:DWORD dst_unused:UNUSED_PAD src0_sel:WORD_1 src1_sel:WORD_1
	v_fma_f16 v2, v22, s16, v2
	v_fma_f16 v1, v22, s12, v1
	v_sub_f16_e32 v47, v38, v42
	v_fma_f16 v6, v0, s14, v2
	v_fma_f16 v10, v0, s14, v1
	v_fma_f16 v1, v30, s15, v27
	v_fma_f16 v2, v30, s13, v27
	v_fma_f16 v3, v34, -0.5, v28
	v_add_f16_sdwa v29, v29, v38 dst_sel:DWORD dst_unused:UNUSED_PAD src0_sel:DWORD src1_sel:WORD_1
	v_sub_f16_e32 v46, v42, v38
	v_sub_f16_sdwa v48, v42, v38 dst_sel:DWORD dst_unused:UNUSED_PAD src0_sel:WORD_1 src1_sel:WORD_1
	v_sub_f16_sdwa v38, v38, v42 dst_sel:DWORD dst_unused:UNUSED_PAD src0_sel:WORD_1 src1_sel:WORD_1
	v_add_f16_e32 v0, v33, v47
	v_fma_f16 v1, v41, s12, v1
	v_fma_f16 v2, v41, s16, v2
	;; [unrolled: 1-line block ×5, first 2 shown]
	v_add_f16_e32 v2, v36, v38
	v_fma_f16 v13, v45, s16, v13
	v_fma_f16 v3, v37, s15, v3
	;; [unrolled: 1-line block ×5, first 2 shown]
	v_mul_f16_e32 v3, 0x3b9c, v13
	v_fma_f16 v14, v1, s14, v3
	v_mul_f16_e32 v1, 0xbb9c, v1
	v_fma_f16 v13, v13, s14, v1
	;; [unrolled: 2-line block ×4, first 2 shown]
	v_add_f16_e32 v0, v7, v17
	v_add_f16_e32 v1, v10, v23
	v_pack_b32_f16 v1, v0, v1
	v_add_f16_e32 v0, v5, v14
	v_add_f16_e32 v2, v6, v13
	v_pack_b32_f16 v0, v0, v2
	v_add_f16_e32 v12, v16, v12
	v_add_f16_e32 v16, v20, v25
	v_fma_f16 v20, v35, -0.5, v28
	v_fma_f16 v2, v41, s13, v8
	v_fma_f16 v11, v18, -0.5, v11
	v_add_f16_e32 v18, v32, v46
	v_fma_f16 v2, v30, s12, v2
	v_fma_f16 v3, v45, s15, v20
	v_add_f16_e32 v24, v39, v48
	v_fma_f16 v2, v18, s14, v2
	v_fma_f16 v3, v37, s16, v3
	;; [unrolled: 1-line block ×3, first 2 shown]
	v_mul_f16_e32 v25, 0x3a79, v2
	v_mul_f16_e32 v2, 0xb8b4, v2
	v_fma_f16 v27, v3, s17, v2
	v_fma_f16 v2, v21, s13, v9
	;; [unrolled: 1-line block ×8, first 2 shown]
	v_add_f16_sdwa v29, v29, v42 dst_sel:DWORD dst_unused:UNUSED_PAD src0_sel:DWORD src1_sel:WORD_1
	v_add_f16_e32 v2, v28, v25
	v_add_f16_e32 v3, v33, v27
	v_pack_b32_f16 v3, v2, v3
	v_add_f16_e32 v2, v26, v49
	v_add_f16_e32 v32, v4, v29
	v_pack_b32_f16 v2, v2, v32
	v_add_co_u32_e32 v32, vcc, s0, v93
	v_mul_u32_u24_e32 v34, 10, v32
	v_lshlrev_b32_e32 v115, 2, v34
	ds_write2_b64 v115, v[2:3], v[0:1] offset1:1
	v_sub_f16_e32 v1, v5, v14
	v_fma_f16 v5, v41, s15, v8
	v_sub_f16_e32 v3, v6, v13
	v_fma_f16 v5, v30, s16, v5
	v_fma_f16 v6, v45, s13, v20
	v_sub_f16_e32 v0, v28, v25
	v_sub_f16_e32 v2, v33, v27
	v_fma_f16 v5, v18, s14, v5
	v_fma_f16 v6, v37, s12, v6
	v_pack_b32_f16 v0, v0, v2
	v_pack_b32_f16 v1, v1, v3
	v_fma_f16 v2, v21, s15, v9
	v_fma_f16 v3, v22, s13, v11
	;; [unrolled: 1-line block ×3, first 2 shown]
	v_mul_f16_e32 v8, 0xba79, v5
	v_fma_f16 v2, v15, s16, v2
	v_fma_f16 v3, v19, s12, v3
	;; [unrolled: 1-line block ×3, first 2 shown]
	v_mul_f16_e32 v6, 0xba79, v6
	v_fma_f16 v2, v12, s14, v2
	v_fma_f16 v3, v16, s14, v3
	v_fma_f16 v5, v5, s16, v6
	v_sub_f16_e32 v6, v26, v49
	v_add_f16_e32 v9, v2, v8
	v_sub_f16_e32 v8, v2, v8
	v_sub_f16_e32 v4, v4, v29
	v_add_f16_e32 v2, v3, v5
	v_sub_f16_e32 v7, v7, v17
	v_sub_f16_e32 v10, v10, v23
	;; [unrolled: 1-line block ×3, first 2 shown]
	v_pack_b32_f16 v2, v9, v2
	v_pack_b32_f16 v3, v6, v4
	ds_write2_b64 v115, v[2:3], v[0:1] offset0:2 offset1:3
	v_pack_b32_f16 v1, v8, v5
	v_pack_b32_f16 v0, v7, v10
	s_movk_i32 s20, 0xcd
	ds_write_b64 v115, v[0:1] offset:32
	v_mul_lo_u16_sdwa v0, v93, s20 dst_sel:DWORD dst_unused:UNUSED_PAD src0_sel:BYTE_0 src1_sel:DWORD
	v_lshrrev_b16_e32 v8, 11, v0
	v_mul_lo_u16_e32 v0, 10, v8
	v_sub_u16_e32 v0, v93, v0
	v_and_b32_e32 v9, 0xff, v0
	v_mad_u64_u32 v[4:5], s[0:1], v9, 20, s[2:3]
	s_waitcnt lgkmcnt(0)
	s_barrier
	global_load_dwordx4 v[0:3], v[4:5], off
	global_load_dword v108, v[4:5], off offset:16
	ds_read2_b32 v[25:26], v80 offset0:64 offset1:160
	ds_read2_b32 v[27:28], v98 offset0:128 offset1:224
	ds_read2_b32 v[29:30], v97 offset1:96
	s_mov_b32 s1, 0xbaee
	s_movk_i32 s0, 0x3aee
	s_waitcnt lgkmcnt(2)
	v_lshrrev_b32_e32 v4, 16, v25
	s_waitcnt lgkmcnt(1)
	v_lshrrev_b32_e32 v6, 16, v27
	;; [unrolled: 2-line block ×3, first 2 shown]
	s_waitcnt vmcnt(1)
	v_mul_f16_sdwa v5, v25, v1 dst_sel:DWORD dst_unused:UNUSED_PAD src0_sel:DWORD src1_sel:WORD_1
	v_fma_f16 v5, v4, v1, v5
	v_mul_f16_sdwa v7, v27, v3 dst_sel:DWORD dst_unused:UNUSED_PAD src0_sel:DWORD src1_sel:WORD_1
	v_fma_f16 v7, v6, v3, v7
	v_add_f16_e32 v11, v10, v5
	v_mul_f16_sdwa v4, v4, v1 dst_sel:DWORD dst_unused:UNUSED_PAD src0_sel:DWORD src1_sel:WORD_1
	v_add_f16_e32 v39, v11, v7
	v_sub_f16_e32 v49, v5, v7
	v_add_f16_e32 v5, v5, v7
	v_fma_f16 v7, v25, v1, -v4
	v_mul_f16_sdwa v4, v6, v3 dst_sel:DWORD dst_unused:UNUSED_PAD src0_sel:DWORD src1_sel:WORD_1
	v_fma_f16 v120, v5, -0.5, v10
	v_fma_f16 v6, v27, v3, -v4
	v_add_f16_e32 v10, v29, v7
	ds_read2_b32 v[4:5], v86 offset0:128 offset1:224
	v_add_f16_e32 v27, v10, v6
	v_add_f16_e32 v10, v7, v6
	v_sub_f16_e32 v122, v7, v6
	ds_read2_b32 v[6:7], v100 offset0:64 offset1:160
	ds_read2_b32 v[24:25], v94 offset1:96
	s_waitcnt lgkmcnt(2)
	v_lshrrev_b32_e32 v11, 16, v5
	v_mul_f16_sdwa v12, v5, v0 dst_sel:DWORD dst_unused:UNUSED_PAD src0_sel:DWORD src1_sel:WORD_1
	v_fma_f16 v12, v11, v0, v12
	s_waitcnt lgkmcnt(1)
	v_lshrrev_b32_e32 v13, 16, v7
	v_mul_f16_sdwa v11, v11, v0 dst_sel:DWORD dst_unused:UNUSED_PAD src0_sel:DWORD src1_sel:WORD_1
	v_mul_f16_sdwa v14, v7, v2 dst_sel:DWORD dst_unused:UNUSED_PAD src0_sel:DWORD src1_sel:WORD_1
	s_waitcnt lgkmcnt(0)
	v_lshrrev_b32_e32 v15, 16, v25
	s_waitcnt vmcnt(0)
	v_mul_f16_sdwa v16, v25, v108 dst_sel:DWORD dst_unused:UNUSED_PAD src0_sel:DWORD src1_sel:WORD_1
	v_fma_f16 v5, v5, v0, -v11
	v_mul_f16_sdwa v11, v13, v2 dst_sel:DWORD dst_unused:UNUSED_PAD src0_sel:DWORD src1_sel:WORD_1
	v_fma_f16 v14, v13, v2, v14
	v_fma_f16 v16, v15, v108, v16
	v_fma_f16 v7, v7, v2, -v11
	v_mul_f16_sdwa v11, v15, v108 dst_sel:DWORD dst_unused:UNUSED_PAD src0_sel:DWORD src1_sel:WORD_1
	v_add_f16_e32 v17, v12, v14
	v_sub_f16_e32 v128, v14, v16
	v_add_f16_e32 v14, v14, v16
	v_fma_f16 v11, v25, v108, -v11
	v_fma_f16 v129, v14, -0.5, v12
	v_add_f16_e32 v12, v7, v11
	v_fma_f16 v25, v12, -0.5, v5
	v_add_f16_e32 v5, v5, v7
	v_sub_f16_e32 v130, v7, v11
	v_add_f16_e32 v5, v5, v11
	v_fma_f16 v11, v130, s1, v129
	v_fma_f16 v7, v128, s0, v25
	v_mul_f16_e32 v12, 0x3aee, v11
	v_fma_f16 v131, v7, 0.5, v12
	v_mul_f16_e32 v7, 0xbaee, v7
	v_add_f16_e32 v123, v17, v16
	v_fma_f16 v132, v11, 0.5, v7
	v_mul_u32_u24_e32 v7, 60, v8
	v_add_lshl_u32 v116, v7, v9, 2
	v_add_f16_e32 v7, v27, v5
	v_add_f16_e32 v8, v39, v123
	v_pack_b32_f16 v133, v7, v8
	v_mul_lo_u16_sdwa v7, v31, s20 dst_sel:DWORD dst_unused:UNUSED_PAD src0_sel:BYTE_0 src1_sel:DWORD
	v_lshrrev_b16_e32 v134, 11, v7
	v_mul_lo_u16_e32 v7, 10, v134
	v_sub_u16_e32 v7, v31, v7
	v_and_b32_e32 v137, 0xff, v7
	v_mad_u64_u32 v[7:8], s[20:21], v137, 20, s[2:3]
	global_load_dword v118, v[7:8], off offset:16
	global_load_dwordx4 v[20:23], v[7:8], off
	v_fma_f16 v29, v10, -0.5, v29
	v_fma_f16 v138, v49, s0, v29
	v_fma_f16 v139, v122, s1, v120
	v_add_f16_e32 v7, v138, v131
	v_add_f16_e32 v8, v139, v132
	v_pack_b32_f16 v140, v7, v8
	v_mul_u32_u24_sdwa v7, v32, s22 dst_sel:DWORD dst_unused:UNUSED_PAD src0_sel:WORD_0 src1_sel:DWORD
	v_lshrrev_b32_e32 v141, 19, v7
	v_mul_lo_u16_e32 v7, 10, v141
	v_sub_u16_e32 v142, v32, v7
	v_mul_lo_u16_e32 v7, 20, v142
	v_add_co_u32_e32 v7, vcc, s2, v7
	s_movk_i32 s20, 0x120
	v_addc_co_u32_e32 v8, vcc, 0, v157, vcc
	v_add_co_u32_e32 v135, vcc, s20, v93
	v_mul_u32_u24_sdwa v9, v135, s22 dst_sel:DWORD dst_unused:UNUSED_PAD src0_sel:WORD_0 src1_sel:DWORD
	v_lshrrev_b32_e32 v143, 19, v9
	v_mul_lo_u16_e32 v9, 10, v143
	v_mul_u32_u24_e32 v11, 0xcccd, v78
	v_sub_u16_e32 v144, v135, v9
	v_lshrrev_b32_e32 v145, 19, v11
	v_mul_lo_u16_e32 v9, 20, v144
	v_mul_lo_u16_e32 v11, 10, v145
	v_addc_co_u32_e64 v136, s[20:21], 0, 0, vcc
	v_add_co_u32_e32 v9, vcc, s2, v9
	v_sub_u16_e32 v146, v78, v11
	v_addc_co_u32_e32 v10, vcc, 0, v157, vcc
	v_mul_lo_u16_e32 v11, 20, v146
	v_add_co_u32_e32 v33, vcc, s2, v11
	v_addc_co_u32_e32 v34, vcc, 0, v157, vcc
	global_load_dword v117, v[7:8], off offset:16
	global_load_dwordx4 v[16:19], v[7:8], off
	global_load_dword v114, v[9:10], off offset:16
                                        ; kill: killed $vgpr7 killed $vgpr8
	global_load_dwordx4 v[12:15], v[9:10], off
	global_load_dword v110, v[33:34], off offset:16
	s_nop 0
	global_load_dwordx4 v[8:11], v[33:34], off
	v_fma_f16 v25, v128, s1, v25
	v_fma_f16 v7, v49, s1, v29
	v_fma_f16 v29, v122, s0, v120
	v_fma_f16 v49, v130, s0, v129
	v_mul_f16_e32 v120, -0.5, v25
	v_fma_f16 v120, v49, s0, v120
	v_mul_f16_e32 v49, -0.5, v49
	v_fma_f16 v25, v25, s1, v49
	v_sub_f16_e32 v5, v27, v5
	v_sub_f16_e32 v27, v39, v123
	v_add_f16_e32 v39, v7, v120
	v_add_f16_e32 v49, v29, v25
	v_pack_b32_f16 v39, v39, v49
	v_pack_b32_f16 v5, v5, v27
	ds_read2_b32 v[33:34], v103 offset0:64 offset1:160
	ds_read2_b32 v[35:36], v77 offset1:96
	ds_read2_b32 v[37:38], v95 offset0:64 offset1:160
	ds_read2_b32 v[41:42], v104 offset0:64 offset1:160
	;; [unrolled: 1-line block ×4, first 2 shown]
	ds_read2_b32 v[47:48], v102 offset1:96
	ds_read2_b32 v[124:125], v99 offset0:64 offset1:160
	ds_read2_b32 v[126:127], v69 offset0:128 offset1:224
	s_waitcnt vmcnt(0) lgkmcnt(0)
	s_barrier
	ds_write2_b32 v116, v39, v5 offset0:20 offset1:30
	v_sub_f16_e32 v5, v138, v131
	v_sub_f16_e32 v7, v7, v120
	;; [unrolled: 1-line block ×4, first 2 shown]
	v_pack_b32_f16 v5, v5, v27
	v_pack_b32_f16 v7, v7, v25
	ds_write2_b32 v116, v5, v7 offset0:40 offset1:50
	v_lshrrev_b32_e32 v5, 16, v26
	v_lshrrev_b32_e32 v120, 16, v37
	ds_write2_b32 v116, v133, v140 offset1:10
	v_cmp_gt_u16_e32 vcc, 60, v93
	s_movk_i32 s20, 0x89
	v_mul_f16_sdwa v122, v37, v118 dst_sel:DWORD dst_unused:UNUSED_PAD src0_sel:DWORD src1_sel:WORD_1
	v_mul_f16_sdwa v25, v26, v21 dst_sel:DWORD dst_unused:UNUSED_PAD src0_sel:DWORD src1_sel:WORD_1
	;; [unrolled: 1-line block ×3, first 2 shown]
	v_fma_f16 v5, v5, v21, v25
	v_lshrrev_b32_e32 v25, 16, v28
	v_fma_f16 v7, v26, v21, -v7
	v_mul_f16_sdwa v26, v25, v23 dst_sel:DWORD dst_unused:UNUSED_PAD src0_sel:DWORD src1_sel:WORD_1
	v_fma_f16 v26, v28, v23, -v26
	v_mul_f16_sdwa v27, v28, v23 dst_sel:DWORD dst_unused:UNUSED_PAD src0_sel:DWORD src1_sel:WORD_1
	v_fma_f16 v25, v25, v23, v27
	v_add_f16_e32 v27, v7, v26
	v_lshrrev_b32_e32 v28, 16, v30
	v_fma_f16 v27, v27, -0.5, v30
	v_add_f16_e32 v29, v30, v7
	v_add_f16_e32 v30, v28, v5
	v_sub_f16_e32 v39, v5, v25
	v_add_f16_e32 v5, v5, v25
	v_add_f16_e32 v30, v30, v25
	v_fma_f16 v5, v5, -0.5, v28
	v_add_f16_e32 v25, v29, v26
	v_sub_f16_e32 v7, v7, v26
	v_lshrrev_b32_e32 v26, 16, v33
	v_mul_f16_sdwa v28, v33, v20 dst_sel:DWORD dst_unused:UNUSED_PAD src0_sel:DWORD src1_sel:WORD_1
	v_fma_f16 v28, v26, v20, v28
	v_lshrrev_b32_e32 v29, 16, v35
	v_mul_f16_sdwa v49, v35, v22 dst_sel:DWORD dst_unused:UNUSED_PAD src0_sel:DWORD src1_sel:WORD_1
	v_mul_f16_sdwa v26, v26, v20 dst_sel:DWORD dst_unused:UNUSED_PAD src0_sel:DWORD src1_sel:WORD_1
	v_fma_f16 v49, v29, v22, v49
	v_fma_f16 v26, v33, v20, -v26
	v_mul_f16_sdwa v29, v29, v22 dst_sel:DWORD dst_unused:UNUSED_PAD src0_sel:DWORD src1_sel:WORD_1
	v_mul_f16_sdwa v33, v120, v118 dst_sel:DWORD dst_unused:UNUSED_PAD src0_sel:DWORD src1_sel:WORD_1
	v_fma_f16 v122, v120, v118, v122
	v_fma_f16 v29, v35, v22, -v29
	v_fma_f16 v33, v37, v118, -v33
	v_add_f16_e32 v123, v28, v49
	v_sub_f16_e32 v128, v49, v122
	v_add_f16_e32 v49, v49, v122
	v_add_f16_e32 v35, v29, v33
	v_fma_f16 v28, v49, -0.5, v28
	v_fma_f16 v35, v35, -0.5, v26
	v_add_f16_e32 v26, v26, v29
	v_sub_f16_e32 v29, v29, v33
	v_fma_f16 v37, v29, s1, v28
	v_add_f16_e32 v26, v26, v33
	v_fma_f16 v33, v128, s0, v35
	v_mul_f16_e32 v49, 0x3aee, v37
	v_fma_f16 v49, v33, 0.5, v49
	v_mul_f16_e32 v33, 0xbaee, v33
	v_fma_f16 v129, v7, s1, v5
	v_fma_f16 v5, v7, s0, v5
	;; [unrolled: 1-line block ×3, first 2 shown]
	v_add_f16_e32 v123, v123, v122
	v_fma_f16 v33, v37, 0.5, v33
	v_mul_u32_u24_e32 v37, 60, v134
	v_fma_f16 v28, v29, s0, v28
	v_mul_f16_e32 v29, -0.5, v7
	v_add_lshl_u32 v122, v37, v137, 2
	v_add_f16_e32 v37, v25, v26
	v_add_f16_e32 v120, v30, v123
	v_fma_f16 v29, v28, s0, v29
	v_mul_f16_e32 v28, -0.5, v28
	v_pack_b32_f16 v37, v37, v120
	v_fma_f16 v120, v39, s0, v27
	v_fma_f16 v27, v39, s1, v27
	;; [unrolled: 1-line block ×3, first 2 shown]
	v_sub_f16_e32 v25, v25, v26
	v_sub_f16_e32 v26, v30, v123
	v_add_f16_e32 v28, v27, v29
	v_add_f16_e32 v30, v5, v7
	v_pack_b32_f16 v28, v28, v30
	v_pack_b32_f16 v25, v25, v26
	ds_write2_b32 v122, v28, v25 offset0:20 offset1:30
	v_sub_f16_e32 v25, v120, v49
	v_sub_f16_e32 v26, v27, v29
	;; [unrolled: 1-line block ×4, first 2 shown]
	v_pack_b32_f16 v7, v25, v27
	v_pack_b32_f16 v5, v26, v5
	ds_write2_b32 v122, v7, v5 offset0:40 offset1:50
	v_lshrrev_b32_e32 v5, 16, v34
	v_mul_f16_sdwa v25, v34, v16 dst_sel:DWORD dst_unused:UNUSED_PAD src0_sel:DWORD src1_sel:WORD_1
	v_mul_f16_sdwa v7, v5, v16 dst_sel:DWORD dst_unused:UNUSED_PAD src0_sel:DWORD src1_sel:WORD_1
	v_fma_f16 v5, v5, v16, v25
	v_lshrrev_b32_e32 v25, 16, v36
	v_mul_f16_sdwa v27, v36, v18 dst_sel:DWORD dst_unused:UNUSED_PAD src0_sel:DWORD src1_sel:WORD_1
	v_mul_f16_sdwa v26, v25, v18 dst_sel:DWORD dst_unused:UNUSED_PAD src0_sel:DWORD src1_sel:WORD_1
	v_fma_f16 v25, v25, v18, v27
	;; [unrolled: 4-line block ×3, first 2 shown]
	v_lshrrev_b32_e32 v29, 16, v43
	v_mul_f16_sdwa v30, v43, v17 dst_sel:DWORD dst_unused:UNUSED_PAD src0_sel:DWORD src1_sel:WORD_1
	v_add_f16_e32 v130, v120, v49
	v_add_f16_e32 v131, v129, v33
	v_fma_f16 v7, v34, v16, -v7
	v_fma_f16 v30, v29, v17, v30
	v_lshrrev_b32_e32 v33, 16, v45
	v_mul_f16_sdwa v34, v45, v19 dst_sel:DWORD dst_unused:UNUSED_PAD src0_sel:DWORD src1_sel:WORD_1
	v_lshrrev_b32_e32 v35, 16, v41
	v_mul_f16_sdwa v29, v29, v17 dst_sel:DWORD dst_unused:UNUSED_PAD src0_sel:DWORD src1_sel:WORD_1
	v_pack_b32_f16 v130, v130, v131
	v_fma_f16 v26, v36, v18, -v26
	v_fma_f16 v34, v33, v19, v34
	v_add_f16_e32 v36, v35, v30
	v_fma_f16 v29, v43, v17, -v29
	v_mul_f16_sdwa v33, v33, v19 dst_sel:DWORD dst_unused:UNUSED_PAD src0_sel:DWORD src1_sel:WORD_1
	ds_write2_b32 v122, v37, v130 offset1:10
	v_add_f16_e32 v36, v36, v34
	v_sub_f16_e32 v37, v30, v34
	v_add_f16_e32 v30, v30, v34
	v_fma_f16 v33, v45, v19, -v33
	v_add_f16_e32 v34, v41, v29
	v_fma_f16 v28, v38, v117, -v28
	v_fma_f16 v30, v30, -0.5, v35
	v_add_f16_e32 v34, v34, v33
	v_add_f16_e32 v35, v29, v33
	v_sub_f16_e32 v29, v29, v33
	v_add_f16_e32 v33, v5, v25
	v_sub_f16_e32 v38, v25, v27
	v_add_f16_e32 v25, v25, v27
	v_fma_f16 v5, v25, -0.5, v5
	v_add_f16_e32 v25, v26, v28
	v_fma_f16 v25, v25, -0.5, v7
	v_add_f16_e32 v7, v7, v26
	v_sub_f16_e32 v26, v26, v28
	v_add_f16_e32 v7, v7, v28
	v_fma_f16 v28, v26, s1, v5
	v_add_f16_e32 v33, v33, v27
	v_fma_f16 v27, v38, s0, v25
	v_mul_f16_e32 v39, 0x3aee, v28
	v_fma_f16 v25, v38, s1, v25
	v_fma_f16 v39, v27, 0.5, v39
	v_mul_f16_e32 v27, 0xbaee, v27
	v_fma_f16 v5, v26, s0, v5
	v_mul_f16_e32 v26, -0.5, v25
	v_fma_f16 v27, v28, 0.5, v27
	v_mad_legacy_u16 v28, v141, 60, v142
	v_add_f16_e32 v43, v34, v7
	v_add_f16_e32 v45, v36, v33
	v_fma_f16 v35, v35, -0.5, v41
	v_fma_f16 v26, v5, s0, v26
	v_mul_f16_e32 v5, -0.5, v5
	v_pack_b32_f16 v43, v43, v45
	v_fma_f16 v45, v29, s1, v30
	v_lshlrev_b32_e32 v123, 2, v28
	v_fma_f16 v28, v37, s1, v35
	v_fma_f16 v29, v29, s0, v30
	;; [unrolled: 1-line block ×3, first 2 shown]
	v_sub_f16_e32 v7, v34, v7
	v_sub_f16_e32 v25, v36, v33
	v_add_f16_e32 v30, v28, v26
	v_add_f16_e32 v33, v29, v5
	v_fma_f16 v41, v37, s0, v35
	v_pack_b32_f16 v30, v30, v33
	v_pack_b32_f16 v7, v7, v25
	ds_write2_b32 v123, v30, v7 offset0:20 offset1:30
	v_sub_f16_e32 v7, v41, v39
	v_sub_f16_e32 v25, v28, v26
	;; [unrolled: 1-line block ×4, first 2 shown]
	v_pack_b32_f16 v7, v7, v26
	v_pack_b32_f16 v5, v25, v5
	ds_write2_b32 v123, v7, v5 offset0:40 offset1:50
	v_lshrrev_b32_e32 v5, 16, v44
	v_mul_f16_sdwa v25, v44, v13 dst_sel:DWORD dst_unused:UNUSED_PAD src0_sel:DWORD src1_sel:WORD_1
	v_add_f16_e32 v120, v45, v27
	v_mul_f16_sdwa v7, v5, v13 dst_sel:DWORD dst_unused:UNUSED_PAD src0_sel:DWORD src1_sel:WORD_1
	v_fma_f16 v5, v5, v13, v25
	v_lshrrev_b32_e32 v25, 16, v46
	v_mul_f16_sdwa v27, v46, v15 dst_sel:DWORD dst_unused:UNUSED_PAD src0_sel:DWORD src1_sel:WORD_1
	v_fma_f16 v7, v44, v13, -v7
	v_mul_f16_sdwa v26, v25, v15 dst_sel:DWORD dst_unused:UNUSED_PAD src0_sel:DWORD src1_sel:WORD_1
	v_fma_f16 v25, v25, v15, v27
	v_lshrrev_b32_e32 v28, 16, v42
	v_fma_f16 v26, v46, v15, -v26
	v_add_f16_e32 v29, v42, v7
	v_add_f16_e32 v30, v28, v5
	v_sub_f16_e32 v33, v5, v25
	v_add_f16_e32 v5, v5, v25
	v_add_f16_e32 v27, v7, v26
	;; [unrolled: 1-line block ×3, first 2 shown]
	v_fma_f16 v5, v5, -0.5, v28
	v_add_f16_e32 v25, v29, v26
	v_sub_f16_e32 v7, v7, v26
	v_lshrrev_b32_e32 v26, 16, v47
	v_mul_f16_sdwa v28, v47, v12 dst_sel:DWORD dst_unused:UNUSED_PAD src0_sel:DWORD src1_sel:WORD_1
	v_lshrrev_b32_e32 v29, 16, v124
	v_mul_f16_sdwa v34, v124, v14 dst_sel:DWORD dst_unused:UNUSED_PAD src0_sel:DWORD src1_sel:WORD_1
	;; [unrolled: 2-line block ×3, first 2 shown]
	v_fma_f16 v28, v26, v12, v28
	v_fma_f16 v34, v29, v14, v34
	;; [unrolled: 1-line block ×3, first 2 shown]
	v_add_f16_e32 v37, v28, v34
	v_sub_f16_e32 v38, v34, v36
	v_add_f16_e32 v34, v34, v36
	v_fma_f16 v28, v34, -0.5, v28
	v_mul_f16_sdwa v29, v29, v14 dst_sel:DWORD dst_unused:UNUSED_PAD src0_sel:DWORD src1_sel:WORD_1
	v_mul_f16_sdwa v34, v35, v114 dst_sel:DWORD dst_unused:UNUSED_PAD src0_sel:DWORD src1_sel:WORD_1
	v_mul_f16_sdwa v26, v26, v12 dst_sel:DWORD dst_unused:UNUSED_PAD src0_sel:DWORD src1_sel:WORD_1
	v_fma_f16 v29, v124, v14, -v29
	v_fma_f16 v34, v126, v114, -v34
	v_add_f16_e32 v49, v41, v39
	v_fma_f16 v26, v47, v12, -v26
	v_add_f16_e32 v35, v29, v34
	v_pack_b32_f16 v49, v49, v120
	v_fma_f16 v35, v35, -0.5, v26
	ds_write2_b32 v123, v43, v49 offset1:10
	v_add_f16_e32 v26, v26, v29
	v_sub_f16_e32 v29, v29, v34
	v_fma_f16 v43, v7, s1, v5
	v_fma_f16 v5, v7, s0, v5
	;; [unrolled: 1-line block ×3, first 2 shown]
	v_add_f16_e32 v37, v37, v36
	v_add_f16_e32 v26, v26, v34
	v_fma_f16 v36, v29, s1, v28
	v_fma_f16 v28, v29, s0, v28
	v_mul_f16_e32 v29, -0.5, v7
	v_fma_f16 v27, v27, -0.5, v42
	v_fma_f16 v34, v38, s0, v35
	v_mul_f16_e32 v39, 0x3aee, v36
	v_add_f16_e32 v41, v25, v26
	v_add_f16_e32 v42, v30, v37
	v_fma_f16 v29, v28, s0, v29
	v_mul_f16_e32 v28, -0.5, v28
	v_fma_f16 v39, v34, 0.5, v39
	v_mul_f16_e32 v34, 0xbaee, v34
	v_pack_b32_f16 v41, v41, v42
	v_fma_f16 v42, v33, s0, v27
	v_fma_f16 v27, v33, s1, v27
	;; [unrolled: 1-line block ×3, first 2 shown]
	v_fma_f16 v34, v36, 0.5, v34
	v_mad_legacy_u16 v36, v143, 60, v144
	v_sub_f16_e32 v25, v25, v26
	v_sub_f16_e32 v26, v30, v37
	v_add_f16_e32 v28, v27, v29
	v_add_f16_e32 v30, v5, v7
	v_lshlrev_b32_e32 v124, 2, v36
	v_pack_b32_f16 v28, v28, v30
	v_pack_b32_f16 v25, v25, v26
	ds_write2_b32 v124, v28, v25 offset0:20 offset1:30
	v_sub_f16_e32 v25, v42, v39
	v_sub_f16_e32 v26, v27, v29
	;; [unrolled: 1-line block ×4, first 2 shown]
	v_pack_b32_f16 v7, v25, v27
	v_pack_b32_f16 v5, v26, v5
	ds_write2_b32 v124, v7, v5 offset0:40 offset1:50
	v_lshrrev_b32_e32 v5, 16, v48
	v_mul_f16_sdwa v25, v48, v8 dst_sel:DWORD dst_unused:UNUSED_PAD src0_sel:DWORD src1_sel:WORD_1
	v_mul_f16_sdwa v7, v5, v8 dst_sel:DWORD dst_unused:UNUSED_PAD src0_sel:DWORD src1_sel:WORD_1
	v_fma_f16 v5, v5, v8, v25
	v_lshrrev_b32_e32 v25, 16, v6
	v_mul_f16_sdwa v26, v25, v9 dst_sel:DWORD dst_unused:UNUSED_PAD src0_sel:DWORD src1_sel:WORD_1
	v_fma_f16 v26, v6, v9, -v26
	v_mul_f16_sdwa v6, v6, v9 dst_sel:DWORD dst_unused:UNUSED_PAD src0_sel:DWORD src1_sel:WORD_1
	v_fma_f16 v6, v25, v9, v6
	v_lshrrev_b32_e32 v25, 16, v125
	v_mul_f16_sdwa v28, v125, v10 dst_sel:DWORD dst_unused:UNUSED_PAD src0_sel:DWORD src1_sel:WORD_1
	v_mul_f16_sdwa v27, v25, v10 dst_sel:DWORD dst_unused:UNUSED_PAD src0_sel:DWORD src1_sel:WORD_1
	v_fma_f16 v25, v25, v10, v28
	v_lshrrev_b32_e32 v28, 16, v24
	v_mul_f16_sdwa v29, v28, v11 dst_sel:DWORD dst_unused:UNUSED_PAD src0_sel:DWORD src1_sel:WORD_1
	v_fma_f16 v29, v24, v11, -v29
	v_mul_f16_sdwa v24, v24, v11 dst_sel:DWORD dst_unused:UNUSED_PAD src0_sel:DWORD src1_sel:WORD_1
	v_fma_f16 v24, v28, v11, v24
	v_lshrrev_b32_e32 v28, 16, v127
	v_mul_f16_sdwa v33, v127, v110 dst_sel:DWORD dst_unused:UNUSED_PAD src0_sel:DWORD src1_sel:WORD_1
	v_add_f16_e32 v45, v43, v34
	v_mul_f16_sdwa v30, v28, v110 dst_sel:DWORD dst_unused:UNUSED_PAD src0_sel:DWORD src1_sel:WORD_1
	v_fma_f16 v28, v28, v110, v33
	v_add_f16_e32 v33, v26, v29
	v_lshrrev_b32_e32 v34, 16, v4
	v_fma_f16 v33, v33, -0.5, v4
	v_add_f16_e32 v4, v4, v26
	v_add_f16_e32 v35, v34, v6
	v_fma_f16 v27, v125, v10, -v27
	v_fma_f16 v30, v127, v110, -v30
	v_add_f16_e32 v35, v35, v24
	v_sub_f16_e32 v36, v6, v24
	v_add_f16_e32 v6, v6, v24
	v_add_f16_e32 v4, v4, v29
	v_sub_f16_e32 v24, v26, v29
	v_add_f16_e32 v26, v5, v25
	v_sub_f16_e32 v29, v25, v28
	v_add_f16_e32 v25, v25, v28
	v_fma_f16 v7, v48, v8, -v7
	v_fma_f16 v5, v25, -0.5, v5
	v_add_f16_e32 v25, v27, v30
	v_fma_f16 v25, v25, -0.5, v7
	v_add_f16_e32 v7, v7, v27
	v_sub_f16_e32 v27, v27, v30
	v_fma_f16 v6, v6, -0.5, v34
	v_add_f16_e32 v7, v7, v30
	v_fma_f16 v30, v27, s1, v5
	v_add_f16_e32 v44, v42, v39
	v_add_f16_e32 v26, v26, v28
	v_fma_f16 v28, v29, s0, v25
	v_mul_f16_e32 v34, 0x3aee, v30
	v_fma_f16 v39, v24, s1, v6
	v_fma_f16 v6, v24, s0, v6
	;; [unrolled: 1-line block ×3, first 2 shown]
	v_fma_f16 v34, v28, 0.5, v34
	v_mul_f16_e32 v28, 0xbaee, v28
	v_fma_f16 v5, v27, s0, v5
	v_mul_f16_e32 v25, -0.5, v24
	v_fma_f16 v28, v30, 0.5, v28
	v_mad_legacy_u16 v30, v145, 60, v146
	v_fma_f16 v25, v5, s0, v25
	v_mul_f16_e32 v5, -0.5, v5
	v_lshlrev_b32_e32 v125, 2, v30
	v_fma_f16 v30, v36, s1, v33
	v_fma_f16 v5, v24, s1, v5
	v_add_f16_e32 v37, v4, v7
	v_add_f16_e32 v38, v35, v26
	v_sub_f16_e32 v4, v4, v7
	v_sub_f16_e32 v7, v35, v26
	v_add_f16_e32 v24, v30, v25
	v_add_f16_e32 v26, v6, v5
	v_pack_b32_f16 v44, v44, v45
	v_pack_b32_f16 v37, v37, v38
	v_fma_f16 v38, v36, s0, v33
	v_pack_b32_f16 v24, v24, v26
	v_pack_b32_f16 v4, v4, v7
	ds_write2_b32 v124, v41, v44 offset1:10
	ds_write2_b32 v125, v24, v4 offset0:20 offset1:30
	v_sub_f16_e32 v4, v38, v34
	v_sub_f16_e32 v7, v30, v25
	;; [unrolled: 1-line block ×4, first 2 shown]
	v_pack_b32_f16 v4, v4, v24
	v_pack_b32_f16 v5, v7, v5
	ds_write2_b32 v125, v4, v5 offset0:40 offset1:50
	v_subrev_u32_e32 v4, 60, v93
	v_cndmask_b32_e32 v24, v4, v93, vcc
	v_mul_i32_i24_e32 v5, 20, v24
	v_add_f16_e32 v41, v38, v34
	v_add_f16_e32 v42, v39, v28
	v_mul_hi_i32_i24_e32 v4, 20, v24
	v_add_co_u32_e32 v25, vcc, s2, v5
	v_pack_b32_f16 v41, v41, v42
	v_addc_co_u32_e32 v26, vcc, v157, v4, vcc
	ds_write2_b32 v125, v37, v41 offset1:10
	s_waitcnt lgkmcnt(0)
	s_barrier
	global_load_dwordx4 v[4:7], v[25:26], off offset:200
	global_load_dword v120, v[25:26], off offset:216
	ds_read2_b32 v[46:47], v80 offset0:64 offset1:160
	v_mul_lo_u16_sdwa v25, v31, s20 dst_sel:DWORD dst_unused:UNUSED_PAD src0_sel:BYTE_0 src1_sel:DWORD
	s_mov_b32 s20, 0x8889
	v_mul_u32_u24_sdwa v26, v32, s20 dst_sel:DWORD dst_unused:UNUSED_PAD src0_sel:WORD_0 src1_sel:DWORD
	ds_read2_b32 v[48:49], v98 offset0:128 offset1:224
	v_lshrrev_b32_e32 v130, 21, v26
	ds_read2_b32 v[133:134], v97 offset1:96
	v_mul_lo_u16_e32 v26, 60, v130
	v_sub_u16_e32 v131, v32, v26
	s_waitcnt lgkmcnt(2)
	v_lshrrev_b32_e32 v26, 16, v46
	v_lshrrev_b16_e32 v132, 13, v25
	s_waitcnt lgkmcnt(1)
	v_lshrrev_b32_e32 v28, 16, v48
	ds_read2_b32 v[41:42], v86 offset0:128 offset1:224
	ds_read2_b32 v[43:44], v94 offset1:96
	v_mul_lo_u16_e32 v25, 60, v132
	s_waitcnt lgkmcnt(2)
	v_lshrrev_b32_e32 v30, 16, v133
	v_sub_u16_e32 v25, v31, v25
	v_and_b32_e32 v164, 0xff, v25
	v_cmp_lt_u16_e32 vcc, 59, v93
	s_waitcnt vmcnt(1)
	v_mul_f16_sdwa v27, v46, v5 dst_sel:DWORD dst_unused:UNUSED_PAD src0_sel:DWORD src1_sel:WORD_1
	v_fma_f16 v27, v26, v5, v27
	v_mul_f16_sdwa v26, v26, v5 dst_sel:DWORD dst_unused:UNUSED_PAD src0_sel:DWORD src1_sel:WORD_1
	v_mul_f16_sdwa v29, v48, v7 dst_sel:DWORD dst_unused:UNUSED_PAD src0_sel:DWORD src1_sel:WORD_1
	v_fma_f16 v26, v46, v5, -v26
	ds_read2_b32 v[45:46], v100 offset0:64 offset1:160
	v_fma_f16 v29, v28, v7, v29
	v_add_f16_e32 v31, v30, v27
	v_sub_f16_e32 v155, v27, v29
	v_add_f16_e32 v27, v27, v29
	v_fma_f16 v156, v27, -0.5, v30
	v_mul_f16_sdwa v27, v28, v7 dst_sel:DWORD dst_unused:UNUSED_PAD src0_sel:DWORD src1_sel:WORD_1
	v_fma_f16 v27, v48, v7, -v27
	v_add_f16_e32 v28, v133, v26
	v_add_f16_e32 v129, v31, v29
	;; [unrolled: 1-line block ×4, first 2 shown]
	v_sub_f16_e32 v159, v26, v27
	s_waitcnt lgkmcnt(2)
	v_lshrrev_b32_e32 v26, 16, v42
	v_mul_f16_sdwa v27, v42, v4 dst_sel:DWORD dst_unused:UNUSED_PAD src0_sel:DWORD src1_sel:WORD_1
	s_waitcnt lgkmcnt(0)
	v_lshrrev_b32_e32 v29, 16, v46
	v_mul_f16_sdwa v30, v46, v6 dst_sel:DWORD dst_unused:UNUSED_PAD src0_sel:DWORD src1_sel:WORD_1
	v_lshrrev_b32_e32 v31, 16, v44
	s_waitcnt vmcnt(0)
	v_mul_f16_sdwa v32, v44, v120 dst_sel:DWORD dst_unused:UNUSED_PAD src0_sel:DWORD src1_sel:WORD_1
	v_fma_f16 v27, v26, v4, v27
	v_fma_f16 v30, v29, v6, v30
	;; [unrolled: 1-line block ×3, first 2 shown]
	v_add_f16_e32 v33, v27, v30
	v_sub_f16_e32 v161, v30, v32
	v_add_f16_e32 v30, v30, v32
	v_fma_f16 v162, v30, -0.5, v27
	v_mul_f16_sdwa v27, v29, v6 dst_sel:DWORD dst_unused:UNUSED_PAD src0_sel:DWORD src1_sel:WORD_1
	v_mul_f16_sdwa v29, v31, v120 dst_sel:DWORD dst_unused:UNUSED_PAD src0_sel:DWORD src1_sel:WORD_1
	;; [unrolled: 1-line block ×3, first 2 shown]
	v_fma_f16 v27, v46, v6, -v27
	v_fma_f16 v29, v44, v120, -v29
	v_fma_f16 v26, v42, v4, -v26
	v_add_f16_e32 v30, v27, v29
	v_fma_f16 v42, v30, -0.5, v26
	v_add_f16_e32 v26, v26, v27
	v_add_f16_e32 v44, v26, v29
	v_mad_u64_u32 v[25:26], s[22:23], v164, 20, s[2:3]
	global_load_dword v127, v[25:26], off offset:216
	global_load_dwordx4 v[36:39], v[25:26], off offset:200
	v_sub_f16_e32 v163, v27, v29
	v_fma_f16 v29, v163, s1, v162
	v_fma_f16 v27, v161, s0, v42
	v_mul_f16_e32 v30, 0x3aee, v29
	v_mov_b32_e32 v25, 0x168
	v_add_f16_e32 v160, v33, v32
	v_fma_f16 v165, v27, 0.5, v30
	v_mul_f16_e32 v27, 0xbaee, v27
	v_cndmask_b32_e32 v25, 0, v25, vcc
	v_fma_f16 v133, v28, -0.5, v133
	v_fma_f16 v166, v29, 0.5, v27
	v_add_lshl_u32 v128, v24, v25, 2
	v_add_f16_e32 v24, v158, v44
	v_add_f16_e32 v25, v129, v160
	v_fma_f16 v168, v155, s0, v133
	v_fma_f16 v169, v159, s1, v156
	v_mul_u32_u24_sdwa v26, v135, s20 dst_sel:DWORD dst_unused:UNUSED_PAD src0_sel:WORD_0 src1_sel:DWORD
	v_pack_b32_f16 v167, v24, v25
	v_add_f16_e32 v24, v168, v165
	v_add_f16_e32 v25, v169, v166
	v_lshrrev_b32_e32 v171, 21, v26
	v_pack_b32_f16 v170, v24, v25
	v_mul_lo_u16_e32 v24, 20, v131
	v_mul_lo_u16_e32 v26, 60, v171
	v_mul_u32_u24_e32 v28, 0x8889, v78
	v_add_co_u32_e32 v24, vcc, s2, v24
	v_sub_u16_e32 v172, v135, v26
	v_lshrrev_b32_e32 v173, 21, v28
	v_addc_co_u32_e32 v25, vcc, 0, v157, vcc
	v_mul_lo_u16_e32 v26, 20, v172
	v_mul_lo_u16_e32 v28, 60, v173
	v_add_co_u32_e32 v26, vcc, s2, v26
	v_sub_u16_e32 v174, v78, v28
	v_addc_co_u32_e32 v27, vcc, 0, v157, vcc
	v_mul_lo_u16_e32 v28, 20, v174
	v_add_co_u32_e32 v137, vcc, s2, v28
	v_addc_co_u32_e32 v138, vcc, 0, v157, vcc
	global_load_dword v126, v[24:25], off offset:216
	global_load_dwordx4 v[32:35], v[24:25], off offset:200
	global_load_dword v48, v[26:27], off offset:216
	global_load_dwordx4 v[28:31], v[26:27], off offset:200
	global_load_dword v46, v[137:138], off offset:216
	s_nop 0
	global_load_dwordx4 v[24:27], v[137:138], off offset:200
	v_fma_f16 v42, v161, s1, v42
	v_fma_f16 v133, v155, s1, v133
	v_fma_f16 v155, v159, s0, v156
	v_fma_f16 v156, v163, s0, v162
	v_mul_f16_e32 v159, -0.5, v42
	v_fma_f16 v159, v156, s0, v159
	v_mul_f16_e32 v156, -0.5, v156
	v_fma_f16 v42, v42, s1, v156
	v_sub_f16_e32 v44, v158, v44
	v_sub_f16_e32 v129, v129, v160
	v_add_f16_e32 v156, v133, v159
	v_add_f16_e32 v158, v155, v42
	v_pack_b32_f16 v156, v156, v158
	v_pack_b32_f16 v44, v44, v129
	ds_read2_b32 v[137:138], v103 offset0:64 offset1:160
	ds_read2_b32 v[139:140], v77 offset1:96
	ds_read2_b32 v[141:142], v95 offset0:64 offset1:160
	ds_read2_b32 v[143:144], v104 offset0:64 offset1:160
	;; [unrolled: 1-line block ×4, first 2 shown]
	ds_read2_b32 v[149:150], v102 offset1:96
	ds_read2_b32 v[151:152], v99 offset0:64 offset1:160
	ds_read2_b32 v[153:154], v69 offset0:128 offset1:224
	s_waitcnt vmcnt(0) lgkmcnt(0)
	s_barrier
	ds_write2_b32 v128, v156, v44 offset0:120 offset1:180
	v_sub_f16_e32 v44, v168, v165
	v_sub_f16_e32 v129, v133, v159
	;; [unrolled: 1-line block ×4, first 2 shown]
	v_pack_b32_f16 v44, v44, v133
	v_pack_b32_f16 v42, v129, v42
	v_add_u32_e32 v129, 0x200, v128
	ds_write2_b32 v129, v44, v42 offset0:112 offset1:172
	v_lshrrev_b32_e32 v42, 16, v47
	v_lshrrev_b32_e32 v155, 16, v134
	;; [unrolled: 1-line block ×3, first 2 shown]
	ds_write2_b32 v128, v167, v170 offset1:60
	s_movk_i32 s20, 0x168
	v_mad_legacy_u16 v130, v130, s20, v131
	v_lshlrev_b32_e32 v130, 2, v130
	v_mul_f16_sdwa v161, v141, v127 dst_sel:DWORD dst_unused:UNUSED_PAD src0_sel:DWORD src1_sel:WORD_1
	v_mul_f16_sdwa v44, v42, v37 dst_sel:DWORD dst_unused:UNUSED_PAD src0_sel:DWORD src1_sel:WORD_1
	v_fma_f16 v44, v47, v37, -v44
	v_mul_f16_sdwa v47, v47, v37 dst_sel:DWORD dst_unused:UNUSED_PAD src0_sel:DWORD src1_sel:WORD_1
	v_fma_f16 v42, v42, v37, v47
	v_lshrrev_b32_e32 v47, 16, v49
	v_mul_f16_sdwa v133, v47, v39 dst_sel:DWORD dst_unused:UNUSED_PAD src0_sel:DWORD src1_sel:WORD_1
	v_fma_f16 v133, v49, v39, -v133
	v_mul_f16_sdwa v49, v49, v39 dst_sel:DWORD dst_unused:UNUSED_PAD src0_sel:DWORD src1_sel:WORD_1
	v_fma_f16 v47, v47, v39, v49
	v_add_f16_e32 v49, v44, v133
	v_fma_f16 v49, v49, -0.5, v134
	v_add_f16_e32 v134, v134, v44
	v_add_f16_e32 v156, v155, v42
	;; [unrolled: 1-line block ×3, first 2 shown]
	v_sub_f16_e32 v158, v42, v47
	v_add_f16_e32 v42, v42, v47
	v_add_f16_e32 v134, v134, v133
	v_sub_f16_e32 v44, v44, v133
	v_lshrrev_b32_e32 v47, 16, v137
	v_mul_f16_sdwa v133, v137, v36 dst_sel:DWORD dst_unused:UNUSED_PAD src0_sel:DWORD src1_sel:WORD_1
	v_fma_f16 v42, v42, -0.5, v155
	v_fma_f16 v133, v47, v36, v133
	v_lshrrev_b32_e32 v155, 16, v139
	v_mul_f16_sdwa v47, v47, v36 dst_sel:DWORD dst_unused:UNUSED_PAD src0_sel:DWORD src1_sel:WORD_1
	v_fma_f16 v47, v137, v36, -v47
	v_mul_f16_sdwa v137, v155, v38 dst_sel:DWORD dst_unused:UNUSED_PAD src0_sel:DWORD src1_sel:WORD_1
	v_mul_f16_sdwa v159, v139, v38 dst_sel:DWORD dst_unused:UNUSED_PAD src0_sel:DWORD src1_sel:WORD_1
	v_fma_f16 v137, v139, v38, -v137
	v_mul_f16_sdwa v139, v160, v127 dst_sel:DWORD dst_unused:UNUSED_PAD src0_sel:DWORD src1_sel:WORD_1
	v_fma_f16 v159, v155, v38, v159
	v_fma_f16 v161, v160, v127, v161
	v_fma_f16 v139, v141, v127, -v139
	v_add_f16_e32 v162, v133, v159
	v_sub_f16_e32 v163, v159, v161
	v_add_f16_e32 v159, v159, v161
	v_add_f16_e32 v141, v137, v139
	v_fma_f16 v133, v159, -0.5, v133
	v_fma_f16 v141, v141, -0.5, v47
	v_add_f16_e32 v47, v47, v137
	v_sub_f16_e32 v137, v137, v139
	v_add_f16_e32 v155, v47, v139
	v_fma_f16 v139, v137, s1, v133
	v_fma_f16 v47, v163, s0, v141
	v_mul_f16_e32 v159, 0x3aee, v139
	v_add_f16_e32 v162, v162, v161
	v_fma_f16 v159, v47, 0.5, v159
	v_mul_f16_e32 v47, 0xbaee, v47
	v_fma_f16 v139, v139, 0.5, v47
	v_mul_u32_u24_e32 v47, 0x168, v132
	v_add_f16_e32 v132, v134, v155
	v_add_f16_e32 v160, v156, v162
	v_pack_b32_f16 v132, v132, v160
	v_fma_f16 v160, v158, s0, v49
	v_fma_f16 v161, v44, s1, v42
	v_add_lshl_u32 v47, v47, v164, 2
	v_add_f16_e32 v164, v160, v159
	v_add_f16_e32 v165, v161, v139
	v_pack_b32_f16 v164, v164, v165
	v_fma_f16 v42, v44, s0, v42
	v_fma_f16 v44, v163, s1, v141
	ds_write2_b32 v47, v132, v164 offset1:60
	v_fma_f16 v132, v137, s0, v133
	v_mul_f16_e32 v133, -0.5, v44
	v_fma_f16 v133, v132, s0, v133
	v_mul_f16_e32 v132, -0.5, v132
	v_fma_f16 v49, v158, s1, v49
	v_fma_f16 v44, v44, s1, v132
	v_sub_f16_e32 v132, v134, v155
	v_sub_f16_e32 v134, v156, v162
	v_add_f16_e32 v137, v49, v133
	v_add_f16_e32 v141, v42, v44
	v_pack_b32_f16 v137, v137, v141
	v_pack_b32_f16 v132, v132, v134
	ds_write2_b32 v47, v137, v132 offset0:120 offset1:180
	v_sub_f16_e32 v132, v160, v159
	v_sub_f16_e32 v49, v49, v133
	;; [unrolled: 1-line block ×4, first 2 shown]
	v_pack_b32_f16 v44, v132, v133
	v_pack_b32_f16 v42, v49, v42
	v_add_u32_e32 v49, 0x200, v47
	ds_write2_b32 v49, v44, v42 offset0:112 offset1:172
	v_lshrrev_b32_e32 v42, 16, v138
	v_mul_f16_sdwa v132, v138, v32 dst_sel:DWORD dst_unused:UNUSED_PAD src0_sel:DWORD src1_sel:WORD_1
	v_mul_f16_sdwa v44, v42, v32 dst_sel:DWORD dst_unused:UNUSED_PAD src0_sel:DWORD src1_sel:WORD_1
	v_fma_f16 v42, v42, v32, v132
	v_lshrrev_b32_e32 v132, 16, v140
	v_mul_f16_sdwa v134, v140, v34 dst_sel:DWORD dst_unused:UNUSED_PAD src0_sel:DWORD src1_sel:WORD_1
	v_fma_f16 v44, v138, v32, -v44
	v_mul_f16_sdwa v133, v132, v34 dst_sel:DWORD dst_unused:UNUSED_PAD src0_sel:DWORD src1_sel:WORD_1
	v_fma_f16 v132, v132, v34, v134
	v_lshrrev_b32_e32 v134, 16, v142
	v_mul_f16_sdwa v138, v142, v126 dst_sel:DWORD dst_unused:UNUSED_PAD src0_sel:DWORD src1_sel:WORD_1
	v_mul_f16_sdwa v137, v134, v126 dst_sel:DWORD dst_unused:UNUSED_PAD src0_sel:DWORD src1_sel:WORD_1
	v_fma_f16 v134, v134, v126, v138
	v_lshrrev_b32_e32 v138, 16, v145
	v_mul_f16_sdwa v139, v145, v33 dst_sel:DWORD dst_unused:UNUSED_PAD src0_sel:DWORD src1_sel:WORD_1
	v_fma_f16 v133, v140, v34, -v133
	v_fma_f16 v137, v142, v126, -v137
	v_fma_f16 v139, v138, v33, v139
	v_lshrrev_b32_e32 v140, 16, v147
	v_mul_f16_sdwa v141, v147, v35 dst_sel:DWORD dst_unused:UNUSED_PAD src0_sel:DWORD src1_sel:WORD_1
	v_lshrrev_b32_e32 v142, 16, v143
	v_mul_f16_sdwa v138, v138, v33 dst_sel:DWORD dst_unused:UNUSED_PAD src0_sel:DWORD src1_sel:WORD_1
	v_fma_f16 v141, v140, v35, v141
	v_add_f16_e32 v155, v142, v139
	v_fma_f16 v138, v145, v33, -v138
	v_mul_f16_sdwa v140, v140, v35 dst_sel:DWORD dst_unused:UNUSED_PAD src0_sel:DWORD src1_sel:WORD_1
	v_add_f16_e32 v155, v155, v141
	v_sub_f16_e32 v156, v139, v141
	v_add_f16_e32 v139, v139, v141
	v_fma_f16 v140, v147, v35, -v140
	v_add_f16_e32 v141, v143, v138
	v_fma_f16 v139, v139, -0.5, v142
	v_add_f16_e32 v141, v141, v140
	v_add_f16_e32 v142, v138, v140
	v_sub_f16_e32 v138, v138, v140
	v_add_f16_e32 v140, v42, v132
	v_sub_f16_e32 v145, v132, v134
	v_add_f16_e32 v132, v132, v134
	v_fma_f16 v42, v132, -0.5, v42
	v_add_f16_e32 v132, v133, v137
	v_fma_f16 v132, v132, -0.5, v44
	v_add_f16_e32 v44, v44, v133
	v_sub_f16_e32 v133, v133, v137
	v_add_f16_e32 v44, v44, v137
	v_fma_f16 v137, v133, s1, v42
	v_add_f16_e32 v140, v140, v134
	v_fma_f16 v134, v145, s0, v132
	v_mul_f16_e32 v147, 0x3aee, v137
	v_fma_f16 v147, v134, 0.5, v147
	v_mul_f16_e32 v134, 0xbaee, v134
	v_fma_f16 v134, v137, 0.5, v134
	v_add_f16_e32 v131, v141, v44
	v_add_f16_e32 v137, v155, v140
	v_pack_b32_f16 v131, v131, v137
	v_fma_f16 v137, v142, -0.5, v143
	v_fma_f16 v142, v156, s0, v137
	v_fma_f16 v143, v138, s1, v139
	;; [unrolled: 1-line block ×3, first 2 shown]
	v_add_f16_e32 v158, v142, v147
	v_add_f16_e32 v159, v143, v134
	v_fma_f16 v42, v133, s0, v42
	v_mul_f16_e32 v133, -0.5, v132
	v_pack_b32_f16 v158, v158, v159
	v_fma_f16 v133, v42, s0, v133
	v_mul_f16_e32 v42, -0.5, v42
	ds_write2_b32 v130, v131, v158 offset1:60
	v_fma_f16 v131, v156, s1, v137
	v_fma_f16 v137, v138, s0, v139
	;; [unrolled: 1-line block ×3, first 2 shown]
	v_sub_f16_e32 v44, v141, v44
	v_sub_f16_e32 v132, v155, v140
	v_add_f16_e32 v138, v131, v133
	v_add_f16_e32 v139, v137, v42
	v_pack_b32_f16 v138, v138, v139
	v_pack_b32_f16 v44, v44, v132
	ds_write2_b32 v130, v138, v44 offset0:120 offset1:180
	v_sub_f16_e32 v44, v142, v147
	v_sub_f16_e32 v131, v131, v133
	;; [unrolled: 1-line block ×4, first 2 shown]
	v_pack_b32_f16 v44, v44, v132
	v_pack_b32_f16 v42, v131, v42
	v_add_u32_e32 v131, 0x200, v130
	ds_write2_b32 v131, v44, v42 offset0:112 offset1:172
	v_lshrrev_b32_e32 v42, 16, v146
	v_mul_f16_sdwa v132, v146, v29 dst_sel:DWORD dst_unused:UNUSED_PAD src0_sel:DWORD src1_sel:WORD_1
	v_mul_f16_sdwa v44, v42, v29 dst_sel:DWORD dst_unused:UNUSED_PAD src0_sel:DWORD src1_sel:WORD_1
	v_fma_f16 v42, v42, v29, v132
	v_lshrrev_b32_e32 v132, 16, v148
	v_mul_f16_sdwa v134, v148, v31 dst_sel:DWORD dst_unused:UNUSED_PAD src0_sel:DWORD src1_sel:WORD_1
	v_fma_f16 v44, v146, v29, -v44
	v_mul_f16_sdwa v133, v132, v31 dst_sel:DWORD dst_unused:UNUSED_PAD src0_sel:DWORD src1_sel:WORD_1
	v_fma_f16 v132, v132, v31, v134
	v_lshrrev_b32_e32 v137, 16, v144
	v_fma_f16 v133, v148, v31, -v133
	v_add_f16_e32 v138, v144, v44
	v_add_f16_e32 v139, v137, v42
	v_sub_f16_e32 v140, v42, v132
	v_add_f16_e32 v42, v42, v132
	v_add_f16_e32 v134, v44, v133
	;; [unrolled: 1-line block ×3, first 2 shown]
	v_fma_f16 v42, v42, -0.5, v137
	v_add_f16_e32 v137, v138, v133
	v_sub_f16_e32 v44, v44, v133
	v_lshrrev_b32_e32 v132, 16, v149
	v_mul_f16_sdwa v133, v149, v28 dst_sel:DWORD dst_unused:UNUSED_PAD src0_sel:DWORD src1_sel:WORD_1
	v_lshrrev_b32_e32 v138, 16, v151
	v_mul_f16_sdwa v141, v151, v30 dst_sel:DWORD dst_unused:UNUSED_PAD src0_sel:DWORD src1_sel:WORD_1
	;; [unrolled: 2-line block ×3, first 2 shown]
	v_fma_f16 v133, v132, v28, v133
	v_fma_f16 v141, v138, v30, v141
	;; [unrolled: 1-line block ×3, first 2 shown]
	v_fma_f16 v134, v134, -0.5, v144
	v_add_f16_e32 v144, v133, v141
	v_sub_f16_e32 v145, v141, v143
	v_add_f16_e32 v141, v141, v143
	v_fma_f16 v133, v141, -0.5, v133
	v_mul_f16_sdwa v138, v138, v30 dst_sel:DWORD dst_unused:UNUSED_PAD src0_sel:DWORD src1_sel:WORD_1
	v_mul_f16_sdwa v141, v142, v48 dst_sel:DWORD dst_unused:UNUSED_PAD src0_sel:DWORD src1_sel:WORD_1
	;; [unrolled: 1-line block ×3, first 2 shown]
	v_fma_f16 v138, v151, v30, -v138
	v_fma_f16 v141, v153, v48, -v141
	;; [unrolled: 1-line block ×3, first 2 shown]
	v_add_f16_e32 v142, v138, v141
	v_fma_f16 v142, v142, -0.5, v132
	v_add_f16_e32 v132, v132, v138
	v_sub_f16_e32 v138, v138, v141
	v_fma_f16 v149, v44, s1, v42
	v_fma_f16 v42, v44, s0, v42
	;; [unrolled: 1-line block ×3, first 2 shown]
	v_add_f16_e32 v144, v144, v143
	v_add_f16_e32 v143, v132, v141
	v_fma_f16 v141, v138, s1, v133
	v_fma_f16 v133, v138, s0, v133
	v_mul_f16_e32 v138, -0.5, v44
	v_fma_f16 v132, v145, s0, v142
	v_mul_f16_e32 v146, 0x3aee, v141
	v_add_f16_e32 v147, v137, v143
	v_add_f16_e32 v148, v139, v144
	v_fma_f16 v138, v133, s0, v138
	v_mul_f16_e32 v133, -0.5, v133
	v_fma_f16 v146, v132, 0.5, v146
	v_mul_f16_e32 v132, 0xbaee, v132
	v_pack_b32_f16 v147, v147, v148
	v_fma_f16 v148, v140, s0, v134
	v_fma_f16 v134, v140, s1, v134
	;; [unrolled: 1-line block ×3, first 2 shown]
	v_fma_f16 v141, v141, 0.5, v132
	v_mad_legacy_u16 v132, v171, s20, v172
	v_sub_f16_e32 v133, v137, v143
	v_sub_f16_e32 v137, v139, v144
	v_add_f16_e32 v139, v134, v138
	v_add_f16_e32 v140, v42, v44
	v_lshlrev_b32_e32 v132, 2, v132
	v_pack_b32_f16 v139, v139, v140
	v_pack_b32_f16 v133, v133, v137
	ds_write2_b32 v132, v139, v133 offset0:120 offset1:180
	v_sub_f16_e32 v133, v148, v146
	v_sub_f16_e32 v134, v134, v138
	;; [unrolled: 1-line block ×4, first 2 shown]
	v_pack_b32_f16 v44, v133, v137
	v_pack_b32_f16 v42, v134, v42
	v_add_u32_e32 v133, 0x200, v132
	ds_write2_b32 v133, v44, v42 offset0:112 offset1:172
	v_lshrrev_b32_e32 v42, 16, v150
	v_mul_f16_sdwa v134, v150, v24 dst_sel:DWORD dst_unused:UNUSED_PAD src0_sel:DWORD src1_sel:WORD_1
	v_mul_f16_sdwa v44, v42, v24 dst_sel:DWORD dst_unused:UNUSED_PAD src0_sel:DWORD src1_sel:WORD_1
	v_fma_f16 v42, v42, v24, v134
	v_lshrrev_b32_e32 v134, 16, v45
	v_mul_f16_sdwa v137, v134, v25 dst_sel:DWORD dst_unused:UNUSED_PAD src0_sel:DWORD src1_sel:WORD_1
	v_fma_f16 v137, v45, v25, -v137
	v_mul_f16_sdwa v45, v45, v25 dst_sel:DWORD dst_unused:UNUSED_PAD src0_sel:DWORD src1_sel:WORD_1
	v_fma_f16 v45, v134, v25, v45
	v_lshrrev_b32_e32 v134, 16, v152
	v_mul_f16_sdwa v139, v152, v26 dst_sel:DWORD dst_unused:UNUSED_PAD src0_sel:DWORD src1_sel:WORD_1
	v_mul_f16_sdwa v138, v134, v26 dst_sel:DWORD dst_unused:UNUSED_PAD src0_sel:DWORD src1_sel:WORD_1
	v_fma_f16 v134, v134, v26, v139
	v_lshrrev_b32_e32 v139, 16, v43
	v_mul_f16_sdwa v140, v139, v27 dst_sel:DWORD dst_unused:UNUSED_PAD src0_sel:DWORD src1_sel:WORD_1
	v_fma_f16 v140, v43, v27, -v140
	v_mul_f16_sdwa v43, v43, v27 dst_sel:DWORD dst_unused:UNUSED_PAD src0_sel:DWORD src1_sel:WORD_1
	v_fma_f16 v43, v139, v27, v43
	v_lshrrev_b32_e32 v139, 16, v154
	v_mul_f16_sdwa v142, v154, v46 dst_sel:DWORD dst_unused:UNUSED_PAD src0_sel:DWORD src1_sel:WORD_1
	v_lshrrev_b32_e32 v143, 16, v41
	v_add_f16_e32 v153, v149, v141
	v_mul_f16_sdwa v141, v139, v46 dst_sel:DWORD dst_unused:UNUSED_PAD src0_sel:DWORD src1_sel:WORD_1
	v_fma_f16 v139, v139, v46, v142
	v_add_f16_e32 v142, v137, v140
	v_add_f16_e32 v144, v143, v45
	v_fma_f16 v142, v142, -0.5, v41
	v_add_f16_e32 v41, v41, v137
	v_add_f16_e32 v144, v144, v43
	v_sub_f16_e32 v145, v45, v43
	v_add_f16_e32 v43, v45, v43
	v_add_f16_e32 v45, v42, v134
	v_fma_f16 v138, v152, v26, -v138
	v_fma_f16 v141, v154, v46, -v141
	v_add_f16_e32 v41, v41, v140
	v_sub_f16_e32 v137, v137, v140
	v_add_f16_e32 v140, v45, v139
	v_add_f16_e32 v45, v134, v139
	v_fma_f16 v44, v150, v24, -v44
	v_fma_f16 v42, v45, -0.5, v42
	v_add_f16_e32 v45, v138, v141
	v_fma_f16 v43, v43, -0.5, v143
	v_sub_f16_e32 v143, v134, v139
	v_fma_f16 v134, v45, -0.5, v44
	v_add_f16_e32 v151, v148, v146
	v_add_f16_e32 v44, v44, v138
	v_sub_f16_e32 v138, v138, v141
	v_fma_f16 v45, v143, s0, v134
	v_fma_f16 v134, v143, s1, v134
	v_pack_b32_f16 v151, v151, v153
	v_add_f16_e32 v44, v44, v141
	v_fma_f16 v139, v138, s1, v42
	v_fma_f16 v148, v137, s1, v43
	;; [unrolled: 1-line block ×4, first 2 shown]
	v_mul_f16_e32 v137, -0.5, v134
	ds_write2_b32 v132, v147, v151 offset1:60
	v_mul_f16_e32 v141, 0x3aee, v139
	v_add_f16_e32 v146, v41, v44
	v_add_f16_e32 v147, v144, v140
	v_fma_f16 v137, v42, s0, v137
	v_mul_f16_e32 v42, -0.5, v42
	v_fma_f16 v141, v45, 0.5, v141
	v_mul_f16_e32 v45, 0xbaee, v45
	v_pack_b32_f16 v146, v146, v147
	v_fma_f16 v147, v145, s0, v142
	v_fma_f16 v142, v145, s1, v142
	v_fma_f16 v42, v134, s1, v42
	v_fma_f16 v139, v139, 0.5, v45
	v_mad_legacy_u16 v45, v173, s20, v174
	v_sub_f16_e32 v41, v41, v44
	v_sub_f16_e32 v44, v144, v140
	v_add_f16_e32 v134, v142, v137
	v_add_f16_e32 v138, v43, v42
	v_lshlrev_b32_e32 v45, 2, v45
	v_pack_b32_f16 v134, v134, v138
	v_pack_b32_f16 v41, v41, v44
	v_add_f16_e32 v149, v147, v141
	v_add_f16_e32 v150, v148, v139
	ds_write2_b32 v45, v134, v41 offset0:120 offset1:180
	v_sub_f16_e32 v41, v147, v141
	v_sub_f16_e32 v44, v142, v137
	;; [unrolled: 1-line block ×4, first 2 shown]
	v_pack_b32_f16 v149, v149, v150
	v_pack_b32_f16 v41, v41, v134
	;; [unrolled: 1-line block ×3, first 2 shown]
	v_add_u32_e32 v134, 0x200, v45
	ds_write2_b32 v45, v146, v149 offset1:60
	ds_write2_b32 v134, v41, v42 offset0:112 offset1:172
	s_waitcnt lgkmcnt(0)
	s_barrier
	global_load_dword v149, v97, s[2:3] offset:1400
	global_load_dword v164, v97, s[2:3] offset:2168
	;; [unrolled: 1-line block ×4, first 2 shown]
	s_movk_i32 s20, 0xffb8
	s_movk_i32 s22, 0x48
	v_add_co_u32_e32 v41, vcc, s20, v93
	v_addc_co_u32_e64 v42, s[20:21], 0, -1, vcc
	v_cmp_gt_u16_e32 vcc, s22, v93
	v_cndmask_b32_e32 v44, v42, v136, vcc
	v_cndmask_b32_e32 v43, v41, v135, vcc
	v_lshlrev_b64 v[41:42], 2, v[43:44]
	s_movk_i32 s20, 0x2a0
	v_add_co_u32_e32 v135, vcc, s2, v41
	v_addc_co_u32_e32 v136, vcc, v157, v42, vcc
	s_movk_i32 s22, 0x2d83
	v_add_co_u32_e32 v41, vcc, s20, v93
	v_mul_u32_u24_sdwa v44, v41, s22 dst_sel:DWORD dst_unused:UNUSED_PAD src0_sel:WORD_0 src1_sel:DWORD
	v_lshrrev_b32_e32 v44, 22, v44
	v_mul_lo_u16_e32 v137, 0x168, v44
	v_sub_u16_e32 v163, v41, v137
	v_lshlrev_b32_e32 v137, 2, v163
	global_load_dword v141, v137, s[2:3] offset:1400
	global_load_dword v146, v[135:136], off offset:1400
	global_load_dword v143, v97, s[2:3] offset:2264
	global_load_dword v144, v97, s[2:3] offset:1496
	v_add_u32_e32 v135, 0x360, v93
	v_mul_u32_u24_sdwa v136, v135, s22 dst_sel:DWORD dst_unused:UNUSED_PAD src0_sel:WORD_0 src1_sel:DWORD
	v_lshrrev_b32_e32 v136, 22, v136
	v_mul_lo_u16_e32 v136, 0x168, v136
	v_sub_u16_e32 v137, v135, v136
	v_add_u32_e32 v135, 0x3c0, v93
	v_mul_u32_u24_sdwa v136, v135, s22 dst_sel:DWORD dst_unused:UNUSED_PAD src0_sel:WORD_0 src1_sel:DWORD
	v_addc_co_u32_e64 v42, s[20:21], 0, 0, vcc
	v_lshrrev_b32_e32 v136, 22, v136
	v_mul_lo_u16_e32 v136, 0x168, v136
	s_movk_i32 s20, 0x420
	v_sub_u16_e32 v138, v135, v136
	v_add_co_u32_e32 v135, vcc, s20, v93
	v_mul_u32_u24_sdwa v136, v135, s22 dst_sel:DWORD dst_unused:UNUSED_PAD src0_sel:WORD_0 src1_sel:DWORD
	v_lshrrev_b32_e32 v165, 22, v136
	v_mul_lo_u16_e32 v136, 0x168, v165
	v_sub_u16_e32 v187, v135, v136
	v_add_u32_e32 v135, 0x4e0, v93
	v_mul_u32_u24_sdwa v136, v135, s22 dst_sel:DWORD dst_unused:UNUSED_PAD src0_sel:WORD_0 src1_sel:DWORD
	v_lshrrev_b32_e32 v136, 22, v136
	v_mul_lo_u16_e32 v136, 0x168, v136
	ds_read2_b32 v[154:155], v100 offset0:64 offset1:160
	v_sub_u16_e32 v145, v135, v136
	v_add_u32_e32 v135, 0x540, v93
	v_mul_u32_u24_sdwa v136, v135, s22 dst_sel:DWORD dst_unused:UNUSED_PAD src0_sel:WORD_0 src1_sel:DWORD
	v_lshrrev_b32_e32 v136, 22, v136
	v_mul_lo_u16_e32 v136, 0x168, v136
	ds_read2_b32 v[158:159], v77 offset1:96
	v_sub_u16_e32 v147, v135, v136
	s_waitcnt lgkmcnt(1)
	v_lshrrev_b32_e32 v135, 16, v155
	v_lshlrev_b32_e32 v138, 2, v138
	s_movk_i32 s20, 0x47
	s_waitcnt lgkmcnt(0)
	v_lshrrev_b32_e32 v148, 16, v158
	v_cmp_lt_u16_e32 vcc, s20, v93
	s_movk_i32 s20, 0x2d0
	v_mad_legacy_u16 v44, v44, s20, v163
	v_lshrrev_b32_e32 v192, 16, v154
	s_waitcnt vmcnt(7)
	v_mul_f16_sdwa v136, v155, v149 dst_sel:DWORD dst_unused:UNUSED_PAD src0_sel:DWORD src1_sel:WORD_1
	v_fma_f16 v139, v135, v149, v136
	v_mul_f16_sdwa v135, v135, v149 dst_sel:DWORD dst_unused:UNUSED_PAD src0_sel:DWORD src1_sel:WORD_1
	v_fma_f16 v140, v155, v149, -v135
	ds_read2_b32 v[135:136], v97 offset1:96
	s_waitcnt vmcnt(5)
	v_mul_f16_sdwa v150, v158, v166 dst_sel:DWORD dst_unused:UNUSED_PAD src0_sel:DWORD src1_sel:WORD_1
	v_fma_f16 v162, v148, v166, v150
	v_mul_f16_sdwa v148, v148, v166 dst_sel:DWORD dst_unused:UNUSED_PAD src0_sel:DWORD src1_sel:WORD_1
	v_fma_f16 v148, v158, v166, -v148
	s_waitcnt lgkmcnt(0)
	v_sub_f16_e32 v158, v136, v148
	v_lshrrev_b32_e32 v148, 16, v135
	v_sub_f16_e32 v140, v135, v140
	v_lshrrev_b32_e32 v188, 16, v136
	v_fma_f16 v189, v136, 2.0, -v158
	v_sub_f16_e32 v136, v148, v139
	v_fma_f16 v135, v135, 2.0, -v140
	v_fma_f16 v139, v148, 2.0, -v136
	v_pack_b32_f16 v190, v135, v139
	v_mul_u32_u24_e32 v135, 0x2d83, v61
	v_lshrrev_b32_e32 v135, 22, v135
	v_mul_lo_u16_e32 v135, 0x168, v135
	v_sub_u16_e32 v135, v61, v135
	v_pack_b32_f16 v191, v140, v136
	v_lshlrev_b32_e32 v140, 2, v135
	v_mul_u32_u24_e32 v135, 0x2d83, v83
	v_lshrrev_b32_e32 v135, 22, v135
	v_mul_lo_u16_e32 v135, 0x168, v135
	v_lshlrev_b32_e32 v150, 2, v187
	v_sub_u16_e32 v135, v83, v135
	v_lshlrev_b32_e32 v139, 2, v137
	v_lshlrev_b32_e32 v137, 2, v135
	v_lshlrev_b32_e32 v136, 2, v145
	v_lshlrev_b32_e32 v135, 2, v147
	global_load_dword v153, v140, s[2:3] offset:1400
	global_load_dword v151, v139, s[2:3] offset:1400
	;; [unrolled: 1-line block ×5, first 2 shown]
	s_nop 0
	global_load_dword v150, v150, s[2:3] offset:1400
	s_nop 0
	global_load_dword v152, v138, s[2:3] offset:1400
	v_sub_f16_e32 v162, v188, v162
	v_fma_f16 v188, v188, 2.0, -v162
	v_pack_b32_f16 v188, v189, v188
	ds_read2_b32 v[155:156], v104 offset0:64 offset1:160
	ds_read2_b32 v[160:161], v99 offset0:64 offset1:160
	ds_read2_b32 v[167:168], v86 offset0:128 offset1:224
	ds_read2_b32 v[169:170], v98 offset0:128 offset1:224
	ds_read2_b32 v[171:172], v103 offset0:64 offset1:160
	ds_read2_b32 v[173:174], v74 offset0:64 offset1:160
	ds_read2_b32 v[175:176], v102 offset1:96
	ds_read2_b32 v[177:178], v94 offset1:96
	ds_read2_b32 v[179:180], v80 offset0:64 offset1:160
	ds_read2_b32 v[181:182], v95 offset0:64 offset1:160
	;; [unrolled: 1-line block ×4, first 2 shown]
	s_waitcnt vmcnt(0) lgkmcnt(0)
	s_barrier
	ds_write_b32 v97, v191 offset:1440
	ds_write2_b32 v97, v190, v188 offset1:96
	v_lshrrev_b32_e32 v188, 16, v159
	v_mul_f16_sdwa v189, v188, v164 dst_sel:DWORD dst_unused:UNUSED_PAD src0_sel:DWORD src1_sel:WORD_1
	v_fma_f16 v189, v159, v164, -v189
	v_mul_f16_sdwa v159, v159, v164 dst_sel:DWORD dst_unused:UNUSED_PAD src0_sel:DWORD src1_sel:WORD_1
	v_fma_f16 v159, v188, v164, v159
	v_lshrrev_b32_e32 v188, 16, v155
	v_pack_b32_f16 v158, v158, v162
	v_sub_f16_e32 v162, v155, v189
	v_sub_f16_e32 v159, v188, v159
	v_fma_f16 v188, v188, 2.0, -v159
	v_fma_f16 v155, v155, 2.0, -v162
	v_pack_b32_f16 v155, v155, v188
	ds_write_b32 v97, v155 offset:768
	v_pack_b32_f16 v155, v162, v159
	v_add_u32_e32 v162, 0x600, v97
	ds_write2_b32 v162, v158, v155 offset0:72 offset1:168
	v_mov_b32_e32 v155, 0x2d0
	v_cndmask_b32_e32 v155, 0, v155, vcc
	v_add_lshl_u32 v158, v43, v155, 2
	v_lshrrev_b32_e32 v43, 16, v160
	v_mul_f16_sdwa v155, v160, v146 dst_sel:DWORD dst_unused:UNUSED_PAD src0_sel:DWORD src1_sel:WORD_1
	v_fma_f16 v155, v43, v146, v155
	v_mul_f16_sdwa v43, v43, v146 dst_sel:DWORD dst_unused:UNUSED_PAD src0_sel:DWORD src1_sel:WORD_1
	v_lshrrev_b32_e32 v159, 16, v161
	v_fma_f16 v43, v160, v146, -v43
	v_mul_f16_sdwa v160, v159, v144 dst_sel:DWORD dst_unused:UNUSED_PAD src0_sel:DWORD src1_sel:WORD_1
	v_fma_f16 v160, v161, v144, -v160
	v_mul_f16_sdwa v161, v161, v144 dst_sel:DWORD dst_unused:UNUSED_PAD src0_sel:DWORD src1_sel:WORD_1
	v_fma_f16 v159, v159, v144, v161
	v_lshrrev_b32_e32 v161, 16, v156
	v_sub_f16_e32 v43, v156, v43
	v_lshrrev_b32_e32 v188, 16, v169
	v_mul_f16_sdwa v189, v169, v142 dst_sel:DWORD dst_unused:UNUSED_PAD src0_sel:DWORD src1_sel:WORD_1
	v_sub_f16_e32 v155, v161, v155
	v_fma_f16 v156, v156, 2.0, -v43
	v_fma_f16 v189, v188, v142, v189
	v_mul_f16_sdwa v188, v188, v142 dst_sel:DWORD dst_unused:UNUSED_PAD src0_sel:DWORD src1_sel:WORD_1
	v_fma_f16 v161, v161, 2.0, -v155
	v_fma_f16 v169, v169, v142, -v188
	v_lshrrev_b32_e32 v188, 16, v167
	v_lshrrev_b32_e32 v190, 16, v168
	v_pack_b32_f16 v156, v156, v161
	v_pack_b32_f16 v43, v43, v155
	v_sub_f16_e32 v160, v167, v160
	v_sub_f16_e32 v169, v168, v169
	ds_write_b32 v158, v156
	ds_write_b32 v158, v43 offset:1440
	v_sub_f16_e32 v43, v188, v159
	v_sub_f16_e32 v156, v190, v189
	v_fma_f16 v167, v167, 2.0, -v160
	v_fma_f16 v168, v168, 2.0, -v169
	;; [unrolled: 1-line block ×4, first 2 shown]
	v_pack_b32_f16 v155, v167, v155
	v_pack_b32_f16 v159, v168, v159
	ds_write2_b32 v106, v155, v159 offset0:104 offset1:200
	v_lshrrev_b32_e32 v155, 16, v170
	v_mul_f16_sdwa v159, v155, v143 dst_sel:DWORD dst_unused:UNUSED_PAD src0_sel:DWORD src1_sel:WORD_1
	v_mul_f16_sdwa v161, v170, v143 dst_sel:DWORD dst_unused:UNUSED_PAD src0_sel:DWORD src1_sel:WORD_1
	v_fma_f16 v159, v170, v143, -v159
	v_fma_f16 v155, v155, v143, v161
	v_pack_b32_f16 v43, v160, v43
	v_lshrrev_b32_e32 v160, 16, v171
	v_sub_f16_e32 v159, v171, v159
	v_sub_f16_e32 v155, v160, v155
	v_fma_f16 v160, v160, 2.0, -v155
	v_fma_f16 v161, v171, 2.0, -v159
	v_pack_b32_f16 v160, v161, v160
	ds_write2_b32 v80, v160, v43 offset0:40 offset1:208
	v_pack_b32_f16 v43, v169, v156
	v_pack_b32_f16 v155, v159, v155
	ds_write2_b32 v105, v43, v155 offset0:48 offset1:144
	v_lshrrev_b32_e32 v43, 16, v173
	v_mul_f16_sdwa v155, v173, v141 dst_sel:DWORD dst_unused:UNUSED_PAD src0_sel:DWORD src1_sel:WORD_1
	v_fma_f16 v155, v43, v141, v155
	v_mul_f16_sdwa v43, v43, v141 dst_sel:DWORD dst_unused:UNUSED_PAD src0_sel:DWORD src1_sel:WORD_1
	v_lshrrev_b32_e32 v156, 16, v174
	v_mul_f16_sdwa v160, v174, v153 dst_sel:DWORD dst_unused:UNUSED_PAD src0_sel:DWORD src1_sel:WORD_1
	v_lshrrev_b32_e32 v167, 16, v178
	;; [unrolled: 2-line block ×3, first 2 shown]
	v_fma_f16 v43, v173, v141, -v43
	v_mul_f16_sdwa v159, v156, v153 dst_sel:DWORD dst_unused:UNUSED_PAD src0_sel:DWORD src1_sel:WORD_1
	v_fma_f16 v156, v156, v153, v160
	v_lshrrev_b32_e32 v160, 16, v177
	v_mul_f16_sdwa v161, v177, v151 dst_sel:DWORD dst_unused:UNUSED_PAD src0_sel:DWORD src1_sel:WORD_1
	v_mul_f16_sdwa v168, v167, v152 dst_sel:DWORD dst_unused:UNUSED_PAD src0_sel:DWORD src1_sel:WORD_1
	v_fma_f16 v167, v167, v152, v169
	v_lshrrev_b32_e32 v169, 16, v181
	v_mul_f16_sdwa v170, v181, v150 dst_sel:DWORD dst_unused:UNUSED_PAD src0_sel:DWORD src1_sel:WORD_1
	v_mul_f16_sdwa v173, v171, v148 dst_sel:DWORD dst_unused:UNUSED_PAD src0_sel:DWORD src1_sel:WORD_1
	v_fma_f16 v159, v174, v153, -v159
	v_fma_f16 v161, v160, v151, v161
	v_mul_f16_sdwa v160, v160, v151 dst_sel:DWORD dst_unused:UNUSED_PAD src0_sel:DWORD src1_sel:WORD_1
	v_fma_f16 v168, v178, v152, -v168
	v_fma_f16 v170, v169, v150, v170
	v_mul_f16_sdwa v169, v169, v150 dst_sel:DWORD dst_unused:UNUSED_PAD src0_sel:DWORD src1_sel:WORD_1
	v_fma_f16 v173, v182, v148, -v173
	v_mul_f16_sdwa v174, v182, v148 dst_sel:DWORD dst_unused:UNUSED_PAD src0_sel:DWORD src1_sel:WORD_1
	v_lshrrev_b32_e32 v178, 16, v186
	v_mul_f16_sdwa v182, v186, v145 dst_sel:DWORD dst_unused:UNUSED_PAD src0_sel:DWORD src1_sel:WORD_1
	v_fma_f16 v160, v177, v151, -v160
	v_fma_f16 v169, v181, v150, -v169
	v_fma_f16 v171, v171, v148, v174
	v_lshrrev_b32_e32 v174, 16, v185
	v_mul_f16_sdwa v177, v185, v147 dst_sel:DWORD dst_unused:UNUSED_PAD src0_sel:DWORD src1_sel:WORD_1
	v_mul_f16_sdwa v181, v178, v145 dst_sel:DWORD dst_unused:UNUSED_PAD src0_sel:DWORD src1_sel:WORD_1
	v_fma_f16 v182, v178, v145, v182
	v_lshrrev_b32_e32 v178, 16, v172
	v_fma_f16 v177, v174, v147, v177
	v_mul_f16_sdwa v174, v174, v147 dst_sel:DWORD dst_unused:UNUSED_PAD src0_sel:DWORD src1_sel:WORD_1
	v_sub_f16_e32 v43, v172, v43
	v_sub_f16_e32 v155, v178, v155
	v_fma_f16 v174, v185, v147, -v174
	v_fma_f16 v172, v172, 2.0, -v43
	v_lshrrev_b32_e32 v185, 16, v175
	v_fma_f16 v163, v178, 2.0, -v155
	v_lshlrev_b32_e32 v178, 2, v44
	v_pack_b32_f16 v43, v43, v155
	v_sub_f16_e32 v159, v175, v159
	ds_write_b32 v178, v43 offset:1440
	v_sub_f16_e32 v43, v185, v156
	v_fma_f16 v181, v186, v145, -v181
	v_lshrrev_b32_e32 v186, 16, v176
	v_fma_f16 v175, v175, 2.0, -v159
	v_pack_b32_f16 v163, v172, v163
	v_fma_f16 v44, v185, 2.0, -v43
	v_pack_b32_f16 v43, v159, v43
	v_sub_f16_e32 v160, v176, v160
	ds_write_b32 v178, v163
	v_pack_b32_f16 v44, v175, v44
	ds_write_b32 v140, v43 offset:7200
	v_sub_f16_e32 v43, v186, v161
	v_fma_f16 v176, v176, 2.0, -v160
	v_lshrrev_b32_e32 v188, 16, v179
	ds_write_b32 v140, v44 offset:5760
	v_fma_f16 v44, v186, 2.0, -v43
	v_pack_b32_f16 v43, v160, v43
	v_sub_f16_e32 v168, v179, v168
	v_pack_b32_f16 v44, v176, v44
	ds_write_b32 v139, v43 offset:7200
	v_sub_f16_e32 v43, v188, v167
	v_fma_f16 v179, v179, 2.0, -v168
	ds_write_b32 v139, v44 offset:5760
	v_fma_f16 v44, v188, 2.0, -v43
	v_lshrrev_b32_e32 v189, 16, v180
	v_pack_b32_f16 v44, v179, v44
	v_pack_b32_f16 v43, v168, v43
	v_sub_f16_e32 v169, v180, v169
	ds_write_b32 v138, v44 offset:5760
	ds_write_b32 v138, v43 offset:7200
	v_mad_legacy_u16 v43, v165, s20, v187
	v_sub_f16_e32 v44, v189, v170
	v_lshrrev_b32_e32 v190, 16, v183
	v_lshlrev_b32_e32 v175, 2, v43
	v_pack_b32_f16 v43, v169, v44
	v_fma_f16 v180, v180, 2.0, -v169
	v_sub_f16_e32 v173, v183, v173
	v_fma_f16 v155, v189, 2.0, -v44
	ds_write_b32 v175, v43 offset:1440
	v_sub_f16_e32 v43, v190, v171
	v_lshrrev_b32_e32 v191, 16, v184
	v_fma_f16 v183, v183, 2.0, -v173
	v_pack_b32_f16 v155, v180, v155
	v_fma_f16 v44, v190, 2.0, -v43
	v_pack_b32_f16 v43, v173, v43
	v_sub_f16_e32 v174, v184, v174
	ds_write_b32 v175, v155
	v_pack_b32_f16 v44, v183, v44
	ds_write_b32 v137, v43 offset:10080
	v_sub_f16_e32 v43, v191, v177
	v_fma_f16 v184, v184, 2.0, -v174
	ds_write_b32 v137, v44 offset:8640
	v_fma_f16 v44, v191, 2.0, -v43
	v_pack_b32_f16 v43, v174, v43
	v_sub_f16_e32 v181, v154, v181
	v_pack_b32_f16 v44, v184, v44
	ds_write_b32 v136, v43 offset:10080
	v_sub_f16_e32 v43, v192, v182
	v_fma_f16 v154, v154, 2.0, -v181
	ds_write_b32 v136, v44 offset:8640
	v_fma_f16 v44, v192, 2.0, -v43
	v_pack_b32_f16 v44, v154, v44
	v_pack_b32_f16 v43, v181, v43
	ds_write_b32 v135, v44 offset:8640
	ds_write_b32 v135, v43 offset:10080
	s_waitcnt lgkmcnt(0)
	s_barrier
	global_load_dword v165, v97, s[2:3] offset:2840
	global_load_dword v179, v97, s[2:3] offset:3992
	;; [unrolled: 1-line block ×6, first 2 shown]
	v_add_co_u32_e32 v203, vcc, s2, v97
	v_addc_co_u32_e32 v204, vcc, 0, v157, vcc
	v_add_co_u32_e32 v43, vcc, s18, v203
	v_addc_co_u32_e32 v44, vcc, 0, v204, vcc
	global_load_dword v155, v[43:44], off offset:88
	global_load_dword v160, v97, s[2:3] offset:3032
	global_load_dword v181, v[43:44], off offset:280
	global_load_dword v180, v[43:44], off offset:664
	;; [unrolled: 1-line block ×3, first 2 shown]
	s_movk_i32 s3, 0xffd0
	v_add_co_u32_e32 v159, vcc, s3, v93
	ds_read2_b32 v[171:172], v77 offset1:96
	v_addc_co_u32_e64 v161, s[20:21], 0, -1, vcc
	v_cmp_gt_u16_e32 vcc, 48, v93
	ds_read2_b32 v[169:170], v100 offset0:64 offset1:160
	v_cndmask_b32_e32 v42, v161, v42, vcc
	v_cndmask_b32_e32 v41, v159, v41, vcc
	v_lshlrev_b64 v[167:168], 2, v[41:42]
	ds_read2_b32 v[173:174], v97 offset1:96
	v_add_co_u32_e32 v167, vcc, s2, v167
	s_waitcnt lgkmcnt(2)
	v_lshrrev_b32_e32 v159, 16, v171
	v_addc_co_u32_e32 v168, vcc, v157, v168, vcc
	s_waitcnt lgkmcnt(1)
	v_lshrrev_b32_e32 v42, 16, v170
	s_waitcnt lgkmcnt(0)
	v_lshrrev_b32_e32 v206, 16, v174
	v_cmp_lt_u16_e32 vcc, 47, v93
	s_mov_b32 s2, 0xb4f2
	s_mov_b32 s3, 0xba79
	s_waitcnt vmcnt(10)
	v_mul_f16_sdwa v157, v170, v165 dst_sel:DWORD dst_unused:UNUSED_PAD src0_sel:DWORD src1_sel:WORD_1
	v_fma_f16 v157, v42, v165, v157
	v_mul_f16_sdwa v42, v42, v165 dst_sel:DWORD dst_unused:UNUSED_PAD src0_sel:DWORD src1_sel:WORD_1
	s_waitcnt vmcnt(7)
	v_mul_f16_sdwa v161, v171, v184 dst_sel:DWORD dst_unused:UNUSED_PAD src0_sel:DWORD src1_sel:WORD_1
	v_fma_f16 v163, v159, v184, v161
	v_mul_f16_sdwa v159, v159, v184 dst_sel:DWORD dst_unused:UNUSED_PAD src0_sel:DWORD src1_sel:WORD_1
	v_fma_f16 v159, v171, v184, -v159
	v_fma_f16 v42, v170, v165, -v42
	v_sub_f16_e32 v205, v174, v159
	v_lshrrev_b32_e32 v159, 16, v173
	v_sub_f16_e32 v42, v173, v42
	v_sub_f16_e32 v157, v159, v157
	v_fma_f16 v161, v173, 2.0, -v42
	v_fma_f16 v159, v159, 2.0, -v157
	v_pack_b32_f16 v208, v161, v159
	v_pack_b32_f16 v42, v42, v157
	global_load_dword v167, v[167:168], off offset:2840
	s_nop 0
	global_load_dword v157, v[43:44], off offset:1240
	global_load_dword v159, v[43:44], off offset:856
	;; [unrolled: 1-line block ×3, first 2 shown]
	v_fma_f16 v207, v174, 2.0, -v205
	ds_read2_b32 v[170:171], v104 offset0:64 offset1:160
	ds_read2_b32 v[173:174], v99 offset0:64 offset1:160
	;; [unrolled: 1-line block ×6, first 2 shown]
	ds_read2_b32 v[191:192], v102 offset1:96
	ds_read2_b32 v[193:194], v94 offset1:96
	ds_read2_b32 v[195:196], v80 offset0:64 offset1:160
	ds_read2_b32 v[197:198], v95 offset0:64 offset1:160
	;; [unrolled: 1-line block ×4, first 2 shown]
	s_waitcnt vmcnt(0) lgkmcnt(0)
	s_barrier
	ds_write_b32 v97, v42 offset:2880
	v_sub_f16_e32 v42, v206, v163
	v_fma_f16 v163, v206, 2.0, -v42
	v_pack_b32_f16 v163, v207, v163
	ds_write2_b32 v97, v208, v163 offset1:96
	v_lshrrev_b32_e32 v163, 16, v172
	v_mul_f16_sdwa v168, v163, v183 dst_sel:DWORD dst_unused:UNUSED_PAD src0_sel:DWORD src1_sel:WORD_1
	v_fma_f16 v168, v172, v183, -v168
	v_mul_f16_sdwa v172, v172, v183 dst_sel:DWORD dst_unused:UNUSED_PAD src0_sel:DWORD src1_sel:WORD_1
	v_fma_f16 v163, v163, v183, v172
	v_lshrrev_b32_e32 v172, 16, v170
	v_sub_f16_e32 v168, v170, v168
	v_sub_f16_e32 v163, v172, v163
	v_pack_b32_f16 v42, v205, v42
	v_pack_b32_f16 v205, v168, v163
	ds_write2_b32 v102, v42, v205 offset0:48 offset1:144
	v_fma_f16 v42, v172, 2.0, -v163
	v_lshrrev_b32_e32 v163, 16, v173
	v_mul_f16_sdwa v172, v173, v179 dst_sel:DWORD dst_unused:UNUSED_PAD src0_sel:DWORD src1_sel:WORD_1
	v_fma_f16 v172, v163, v179, v172
	v_mul_f16_sdwa v163, v163, v179 dst_sel:DWORD dst_unused:UNUSED_PAD src0_sel:DWORD src1_sel:WORD_1
	v_fma_f16 v163, v173, v179, -v163
	v_fma_f16 v168, v170, 2.0, -v168
	v_lshrrev_b32_e32 v170, 16, v171
	v_sub_f16_e32 v163, v171, v163
	v_pack_b32_f16 v42, v168, v42
	v_sub_f16_e32 v168, v170, v172
	v_fma_f16 v171, v171, 2.0, -v163
	v_fma_f16 v170, v170, 2.0, -v168
	v_pack_b32_f16 v170, v171, v170
	ds_write2_b32 v104, v42, v170 offset0:64 offset1:160
	v_lshrrev_b32_e32 v42, 16, v174
	v_mul_f16_sdwa v170, v42, v181 dst_sel:DWORD dst_unused:UNUSED_PAD src0_sel:DWORD src1_sel:WORD_1
	v_fma_f16 v170, v174, v181, -v170
	v_mul_f16_sdwa v171, v174, v181 dst_sel:DWORD dst_unused:UNUSED_PAD src0_sel:DWORD src1_sel:WORD_1
	v_fma_f16 v42, v42, v181, v171
	v_pack_b32_f16 v163, v163, v168
	v_sub_f16_e32 v168, v176, v170
	v_lshrrev_b32_e32 v170, 16, v176
	v_sub_f16_e32 v42, v170, v42
	v_pack_b32_f16 v171, v168, v42
	ds_write2_b32 v80, v163, v171 offset0:112 offset1:208
	v_fma_f16 v42, v170, 2.0, -v42
	v_lshrrev_b32_e32 v163, 16, v185
	v_mul_f16_sdwa v170, v185, v180 dst_sel:DWORD dst_unused:UNUSED_PAD src0_sel:DWORD src1_sel:WORD_1
	v_fma_f16 v170, v163, v180, v170
	v_mul_f16_sdwa v163, v163, v180 dst_sel:DWORD dst_unused:UNUSED_PAD src0_sel:DWORD src1_sel:WORD_1
	v_fma_f16 v163, v185, v180, -v163
	v_fma_f16 v168, v176, 2.0, -v168
	v_lshrrev_b32_e32 v171, 16, v177
	v_sub_f16_e32 v163, v177, v163
	v_pack_b32_f16 v42, v168, v42
	v_sub_f16_e32 v168, v171, v170
	v_fma_f16 v172, v177, 2.0, -v163
	v_fma_f16 v170, v171, 2.0, -v168
	v_pack_b32_f16 v170, v172, v170
	ds_write2_b32 v86, v42, v170 offset0:128 offset1:224
	v_lshrrev_b32_e32 v42, 16, v186
	v_mul_f16_sdwa v170, v42, v182 dst_sel:DWORD dst_unused:UNUSED_PAD src0_sel:DWORD src1_sel:WORD_1
	v_fma_f16 v170, v186, v182, -v170
	v_mul_f16_sdwa v171, v186, v182 dst_sel:DWORD dst_unused:UNUSED_PAD src0_sel:DWORD src1_sel:WORD_1
	v_fma_f16 v42, v42, v182, v171
	v_pack_b32_f16 v163, v163, v168
	v_sub_f16_e32 v168, v187, v170
	v_lshrrev_b32_e32 v170, 16, v187
	v_sub_f16_e32 v42, v170, v42
	v_fma_f16 v170, v170, 2.0, -v42
	v_fma_f16 v171, v187, 2.0, -v168
	v_pack_b32_f16 v170, v171, v170
	v_pack_b32_f16 v42, v168, v42
	ds_write_b32 v97, v170 offset:2304
	ds_write2_b32 v105, v163, v42 offset0:48 offset1:144
	v_mov_b32_e32 v42, 0x5a0
	v_cndmask_b32_e32 v42, 0, v42, vcc
	v_add_lshl_u32 v168, v41, v42, 2
	v_lshrrev_b32_e32 v41, 16, v189
	v_mul_f16_sdwa v42, v189, v167 dst_sel:DWORD dst_unused:UNUSED_PAD src0_sel:DWORD src1_sel:WORD_1
	v_fma_f16 v42, v41, v167, v42
	v_mul_f16_sdwa v41, v41, v167 dst_sel:DWORD dst_unused:UNUSED_PAD src0_sel:DWORD src1_sel:WORD_1
	v_lshrrev_b32_e32 v163, 16, v190
	v_mul_f16_sdwa v171, v190, v160 dst_sel:DWORD dst_unused:UNUSED_PAD src0_sel:DWORD src1_sel:WORD_1
	v_fma_f16 v41, v189, v167, -v41
	v_mul_f16_sdwa v170, v163, v160 dst_sel:DWORD dst_unused:UNUSED_PAD src0_sel:DWORD src1_sel:WORD_1
	v_fma_f16 v163, v163, v160, v171
	v_lshrrev_b32_e32 v171, 16, v188
	v_lshrrev_b32_e32 v173, 16, v193
	v_mul_f16_sdwa v174, v193, v156 dst_sel:DWORD dst_unused:UNUSED_PAD src0_sel:DWORD src1_sel:WORD_1
	v_fma_f16 v170, v190, v160, -v170
	v_sub_f16_e32 v41, v188, v41
	v_fma_f16 v174, v173, v156, v174
	v_mul_f16_sdwa v173, v173, v156 dst_sel:DWORD dst_unused:UNUSED_PAD src0_sel:DWORD src1_sel:WORD_1
	v_sub_f16_e32 v42, v171, v42
	v_fma_f16 v172, v188, 2.0, -v41
	v_fma_f16 v173, v193, v156, -v173
	v_sub_f16_e32 v176, v191, v170
	v_lshrrev_b32_e32 v170, 16, v191
	v_lshrrev_b32_e32 v177, 16, v192
	v_pack_b32_f16 v41, v41, v42
	v_sub_f16_e32 v173, v192, v173
	v_fma_f16 v171, v171, 2.0, -v42
	ds_write_b32 v168, v41 offset:2880
	v_sub_f16_e32 v41, v170, v163
	v_sub_f16_e32 v163, v177, v174
	v_fma_f16 v185, v191, 2.0, -v176
	v_fma_f16 v186, v192, 2.0, -v173
	v_pack_b32_f16 v171, v172, v171
	v_fma_f16 v42, v170, 2.0, -v41
	v_fma_f16 v170, v177, 2.0, -v163
	ds_write_b32 v168, v171
	v_pack_b32_f16 v42, v185, v42
	v_pack_b32_f16 v171, v186, v170
	v_add_u32_e32 v170, 0x1600, v97
	ds_write2_b32 v170, v42, v171 offset0:80 offset1:176
	v_lshrrev_b32_e32 v42, 16, v194
	v_mul_f16_sdwa v171, v42, v154 dst_sel:DWORD dst_unused:UNUSED_PAD src0_sel:DWORD src1_sel:WORD_1
	v_mul_f16_sdwa v172, v194, v154 dst_sel:DWORD dst_unused:UNUSED_PAD src0_sel:DWORD src1_sel:WORD_1
	v_fma_f16 v171, v194, v154, -v171
	v_fma_f16 v42, v42, v154, v172
	v_lshrrev_b32_e32 v172, 16, v195
	v_sub_f16_e32 v171, v195, v171
	v_sub_f16_e32 v42, v172, v42
	v_pack_b32_f16 v163, v173, v163
	v_pack_b32_f16 v173, v171, v42
	ds_write2_b32 v94, v163, v173 offset1:96
	v_fma_f16 v42, v172, 2.0, -v42
	v_lshrrev_b32_e32 v163, 16, v197
	v_mul_f16_sdwa v172, v197, v155 dst_sel:DWORD dst_unused:UNUSED_PAD src0_sel:DWORD src1_sel:WORD_1
	v_fma_f16 v172, v163, v155, v172
	v_mul_f16_sdwa v163, v163, v155 dst_sel:DWORD dst_unused:UNUSED_PAD src0_sel:DWORD src1_sel:WORD_1
	v_fma_f16 v163, v197, v155, -v163
	v_fma_f16 v171, v195, 2.0, -v171
	v_lshrrev_b32_e32 v173, 16, v196
	v_sub_f16_e32 v163, v196, v163
	v_pack_b32_f16 v42, v171, v42
	v_sub_f16_e32 v171, v173, v172
	v_fma_f16 v174, v196, 2.0, -v163
	v_fma_f16 v172, v173, 2.0, -v171
	v_pack_b32_f16 v172, v174, v172
	ds_write2_b32 v77, v42, v172 offset0:144 offset1:240
	v_lshrrev_b32_e32 v42, 16, v198
	v_mul_f16_sdwa v172, v42, v161 dst_sel:DWORD dst_unused:UNUSED_PAD src0_sel:DWORD src1_sel:WORD_1
	v_fma_f16 v172, v198, v161, -v172
	v_mul_f16_sdwa v173, v198, v161 dst_sel:DWORD dst_unused:UNUSED_PAD src0_sel:DWORD src1_sel:WORD_1
	v_fma_f16 v42, v42, v161, v173
	v_pack_b32_f16 v163, v163, v171
	v_sub_f16_e32 v171, v199, v172
	v_lshrrev_b32_e32 v172, 16, v199
	v_sub_f16_e32 v42, v172, v42
	v_pack_b32_f16 v173, v171, v42
	ds_write2_b32 v95, v163, v173 offset0:64 offset1:160
	v_fma_f16 v42, v172, 2.0, -v42
	v_lshrrev_b32_e32 v163, 16, v201
	v_mul_f16_sdwa v172, v201, v159 dst_sel:DWORD dst_unused:UNUSED_PAD src0_sel:DWORD src1_sel:WORD_1
	v_fma_f16 v172, v163, v159, v172
	v_mul_f16_sdwa v163, v163, v159 dst_sel:DWORD dst_unused:UNUSED_PAD src0_sel:DWORD src1_sel:WORD_1
	v_fma_f16 v163, v201, v159, -v163
	v_fma_f16 v171, v199, 2.0, -v171
	v_lshrrev_b32_e32 v173, 16, v200
	v_sub_f16_e32 v163, v200, v163
	v_pack_b32_f16 v42, v171, v42
	v_sub_f16_e32 v171, v173, v172
	v_fma_f16 v174, v200, 2.0, -v163
	v_fma_f16 v172, v173, 2.0, -v171
	v_pack_b32_f16 v172, v174, v172
	ds_write2_b32 v98, v42, v172 offset0:80 offset1:176
	v_lshrrev_b32_e32 v42, 16, v202
	v_mul_f16_sdwa v172, v42, v157 dst_sel:DWORD dst_unused:UNUSED_PAD src0_sel:DWORD src1_sel:WORD_1
	v_mul_f16_sdwa v173, v202, v157 dst_sel:DWORD dst_unused:UNUSED_PAD src0_sel:DWORD src1_sel:WORD_1
	v_fma_f16 v172, v202, v157, -v172
	v_fma_f16 v42, v42, v157, v173
	v_lshrrev_b32_e32 v173, 16, v169
	v_sub_f16_e32 v172, v169, v172
	v_sub_f16_e32 v42, v173, v42
	v_fma_f16 v169, v169, 2.0, -v172
	v_fma_f16 v173, v173, 2.0, -v42
	v_pack_b32_f16 v41, v176, v41
	v_pack_b32_f16 v169, v169, v173
	ds_write2_b32 v74, v169, v41 offset0:16 offset1:160
	v_pack_b32_f16 v41, v163, v171
	v_pack_b32_f16 v42, v172, v42
	ds_write2_b32 v69, v41, v42 offset0:128 offset1:224
	s_waitcnt lgkmcnt(0)
	s_barrier
	global_load_dword v163, v[43:44], off offset:1624
	global_load_dword v177, v[43:44], off offset:2008
	;; [unrolled: 1-line block ×5, first 2 shown]
	v_add_co_u32_e32 v191, vcc, s19, v203
	ds_read2_b32 v[41:42], v100 offset0:64 offset1:160
	v_addc_co_u32_e32 v192, vcc, 0, v204, vcc
	global_load_dword v173, v[43:44], off offset:3544
	global_load_dword v171, v[43:44], off offset:3928
	global_load_dword v169, v[191:192], off offset:216
	ds_read2_b32 v[43:44], v77 offset1:96
	s_waitcnt lgkmcnt(1)
	v_lshrrev_b32_e32 v185, 16, v42
	s_waitcnt lgkmcnt(0)
	v_lshrrev_b32_e32 v188, 16, v43
	s_waitcnt vmcnt(7)
	v_mul_f16_sdwa v186, v42, v163 dst_sel:DWORD dst_unused:UNUSED_PAD src0_sel:DWORD src1_sel:WORD_1
	v_fma_f16 v187, v185, v163, v186
	v_mul_f16_sdwa v185, v185, v163 dst_sel:DWORD dst_unused:UNUSED_PAD src0_sel:DWORD src1_sel:WORD_1
	v_fma_f16 v42, v42, v163, -v185
	ds_read2_b32 v[185:186], v97 offset1:96
	s_waitcnt vmcnt(6)
	v_mul_f16_sdwa v189, v43, v177 dst_sel:DWORD dst_unused:UNUSED_PAD src0_sel:DWORD src1_sel:WORD_1
	v_fma_f16 v189, v188, v177, v189
	v_mul_f16_sdwa v188, v188, v177 dst_sel:DWORD dst_unused:UNUSED_PAD src0_sel:DWORD src1_sel:WORD_1
	v_fma_f16 v43, v43, v177, -v188
	s_waitcnt lgkmcnt(0)
	v_sub_f16_e32 v188, v186, v43
	v_lshrrev_b32_e32 v43, 16, v185
	v_sub_f16_e32 v42, v185, v42
	v_lshrrev_b32_e32 v190, 16, v186
	v_sub_f16_e32 v187, v43, v187
	v_fma_f16 v185, v185, 2.0, -v42
	v_pack_b32_f16 v42, v42, v187
	v_sub_f16_e32 v211, v190, v189
	v_fma_f16 v186, v186, 2.0, -v188
	v_fma_f16 v43, v43, 2.0, -v187
	ds_write_b32 v97, v42 offset:5760
	v_fma_f16 v42, v190, 2.0, -v211
	v_pack_b32_f16 v185, v185, v43
	v_pack_b32_f16 v212, v186, v42
	ds_read2_b32 v[42:43], v104 offset0:64 offset1:160
	ds_read2_b32 v[186:187], v99 offset0:64 offset1:160
	;; [unrolled: 1-line block ×6, first 2 shown]
	ds_read2_b32 v[199:200], v102 offset1:96
	ds_read2_b32 v[201:202], v94 offset1:96
	ds_read2_b32 v[203:204], v80 offset0:64 offset1:160
	ds_read2_b32 v[205:206], v95 offset0:64 offset1:160
	;; [unrolled: 1-line block ×4, first 2 shown]
	ds_write2_b32 v97, v185, v212 offset1:96
	v_lshrrev_b32_e32 v185, 16, v44
	s_waitcnt vmcnt(5)
	v_mul_f16_sdwa v212, v185, v176 dst_sel:DWORD dst_unused:UNUSED_PAD src0_sel:DWORD src1_sel:WORD_1
	v_fma_f16 v212, v44, v176, -v212
	v_mul_f16_sdwa v44, v44, v176 dst_sel:DWORD dst_unused:UNUSED_PAD src0_sel:DWORD src1_sel:WORD_1
	v_fma_f16 v44, v185, v176, v44
	v_pack_b32_f16 v188, v188, v211
	global_load_dword v185, v[191:192], off offset:600
	s_waitcnt lgkmcnt(12)
	v_sub_f16_e32 v211, v42, v212
	v_lshrrev_b32_e32 v212, 16, v42
	v_sub_f16_e32 v44, v212, v44
	v_pack_b32_f16 v213, v211, v44
	ds_write2_b32 v77, v188, v213 offset1:96
	v_fma_f16 v44, v212, 2.0, -v44
	s_waitcnt lgkmcnt(12)
	v_lshrrev_b32_e32 v188, 16, v186
	s_waitcnt vmcnt(5)
	v_mul_f16_sdwa v212, v186, v174 dst_sel:DWORD dst_unused:UNUSED_PAD src0_sel:DWORD src1_sel:WORD_1
	v_fma_f16 v212, v188, v174, v212
	v_mul_f16_sdwa v188, v188, v174 dst_sel:DWORD dst_unused:UNUSED_PAD src0_sel:DWORD src1_sel:WORD_1
	v_fma_f16 v188, v186, v174, -v188
	global_load_dword v186, v[191:192], off offset:984
	v_fma_f16 v42, v42, 2.0, -v211
	v_lshrrev_b32_e32 v211, 16, v43
	v_sub_f16_e32 v188, v43, v188
	v_pack_b32_f16 v42, v42, v44
	v_sub_f16_e32 v44, v211, v212
	v_fma_f16 v43, v43, 2.0, -v188
	v_fma_f16 v211, v211, 2.0, -v44
	v_pack_b32_f16 v43, v43, v211
	ds_write2_b32 v104, v42, v43 offset0:64 offset1:160
	v_lshrrev_b32_e32 v42, 16, v187
	s_waitcnt vmcnt(5)
	v_mul_f16_sdwa v43, v42, v172 dst_sel:DWORD dst_unused:UNUSED_PAD src0_sel:DWORD src1_sel:WORD_1
	v_fma_f16 v43, v187, v172, -v43
	v_mul_f16_sdwa v211, v187, v172 dst_sel:DWORD dst_unused:UNUSED_PAD src0_sel:DWORD src1_sel:WORD_1
	global_load_dword v187, v[191:192], off offset:1368
	v_fma_f16 v42, v42, v172, v211
	v_pack_b32_f16 v44, v188, v44
	s_waitcnt lgkmcnt(12)
	v_lshrrev_b32_e32 v188, 16, v189
	v_sub_f16_e32 v43, v189, v43
	v_sub_f16_e32 v42, v188, v42
	v_pack_b32_f16 v211, v43, v42
	ds_write2_b32 v99, v44, v211 offset0:64 offset1:160
	v_fma_f16 v42, v188, 2.0, -v42
	s_waitcnt lgkmcnt(12)
	v_lshrrev_b32_e32 v44, 16, v193
	s_waitcnt vmcnt(5)
	v_mul_f16_sdwa v188, v193, v173 dst_sel:DWORD dst_unused:UNUSED_PAD src0_sel:DWORD src1_sel:WORD_1
	v_fma_f16 v211, v44, v173, v188
	global_load_dword v188, v[191:192], off offset:1752
	v_mul_f16_sdwa v44, v44, v173 dst_sel:DWORD dst_unused:UNUSED_PAD src0_sel:DWORD src1_sel:WORD_1
	v_fma_f16 v44, v193, v173, -v44
	v_fma_f16 v43, v189, 2.0, -v43
	v_lshrrev_b32_e32 v189, 16, v190
	v_sub_f16_e32 v44, v190, v44
	v_pack_b32_f16 v42, v43, v42
	v_sub_f16_e32 v43, v189, v211
	v_fma_f16 v190, v190, 2.0, -v44
	v_fma_f16 v189, v189, 2.0, -v43
	v_pack_b32_f16 v189, v190, v189
	ds_write2_b32 v86, v42, v189 offset0:128 offset1:224
	global_load_dword v189, v[191:192], off offset:2136
	v_lshrrev_b32_e32 v42, 16, v194
	s_waitcnt vmcnt(6)
	v_mul_f16_sdwa v190, v42, v171 dst_sel:DWORD dst_unused:UNUSED_PAD src0_sel:DWORD src1_sel:WORD_1
	v_fma_f16 v190, v194, v171, -v190
	v_mul_f16_sdwa v193, v194, v171 dst_sel:DWORD dst_unused:UNUSED_PAD src0_sel:DWORD src1_sel:WORD_1
	v_fma_f16 v42, v42, v171, v193
	v_pack_b32_f16 v43, v44, v43
	s_waitcnt lgkmcnt(12)
	v_sub_f16_e32 v44, v195, v190
	v_lshrrev_b32_e32 v190, 16, v195
	v_sub_f16_e32 v42, v190, v42
	v_pack_b32_f16 v193, v44, v42
	v_fma_f16 v42, v190, 2.0, -v42
	global_load_dword v190, v[191:192], off offset:2520
	ds_write2_b32 v98, v43, v193 offset0:128 offset1:224
	global_load_dword v191, v[191:192], off offset:2904
	s_waitcnt lgkmcnt(12)
	v_lshrrev_b32_e32 v43, 16, v197
	s_waitcnt vmcnt(7)
	v_mul_f16_sdwa v193, v197, v169 dst_sel:DWORD dst_unused:UNUSED_PAD src0_sel:DWORD src1_sel:WORD_1
	v_fma_f16 v193, v43, v169, v193
	v_mul_f16_sdwa v43, v43, v169 dst_sel:DWORD dst_unused:UNUSED_PAD src0_sel:DWORD src1_sel:WORD_1
	v_fma_f16 v43, v197, v169, -v43
	v_fma_f16 v44, v195, 2.0, -v44
	v_lshrrev_b32_e32 v194, 16, v196
	v_sub_f16_e32 v43, v196, v43
	v_pack_b32_f16 v42, v44, v42
	v_sub_f16_e32 v44, v194, v193
	v_fma_f16 v195, v196, 2.0, -v43
	v_fma_f16 v193, v194, 2.0, -v44
	v_pack_b32_f16 v193, v195, v193
	ds_write2_b32 v103, v42, v193 offset0:64 offset1:160
	v_lshrrev_b32_e32 v42, 16, v198
	s_waitcnt vmcnt(6)
	v_mul_f16_sdwa v192, v42, v185 dst_sel:DWORD dst_unused:UNUSED_PAD src0_sel:DWORD src1_sel:WORD_1
	v_fma_f16 v192, v198, v185, -v192
	v_mul_f16_sdwa v193, v198, v185 dst_sel:DWORD dst_unused:UNUSED_PAD src0_sel:DWORD src1_sel:WORD_1
	v_fma_f16 v42, v42, v185, v193
	v_pack_b32_f16 v43, v43, v44
	s_waitcnt lgkmcnt(12)
	v_sub_f16_e32 v44, v199, v192
	v_lshrrev_b32_e32 v192, 16, v199
	v_sub_f16_e32 v42, v192, v42
	v_pack_b32_f16 v193, v44, v42
	ds_write2_b32 v74, v43, v193 offset0:64 offset1:160
	v_fma_f16 v42, v192, 2.0, -v42
	s_waitcnt lgkmcnt(12)
	v_lshrrev_b32_e32 v43, 16, v201
	s_waitcnt vmcnt(5)
	v_mul_f16_sdwa v192, v201, v186 dst_sel:DWORD dst_unused:UNUSED_PAD src0_sel:DWORD src1_sel:WORD_1
	v_fma_f16 v192, v43, v186, v192
	v_mul_f16_sdwa v43, v43, v186 dst_sel:DWORD dst_unused:UNUSED_PAD src0_sel:DWORD src1_sel:WORD_1
	v_fma_f16 v43, v201, v186, -v43
	v_fma_f16 v44, v199, 2.0, -v44
	v_lshrrev_b32_e32 v193, 16, v200
	v_sub_f16_e32 v43, v200, v43
	v_pack_b32_f16 v42, v44, v42
	v_sub_f16_e32 v44, v193, v192
	v_fma_f16 v194, v200, 2.0, -v43
	v_fma_f16 v192, v193, 2.0, -v44
	v_pack_b32_f16 v192, v194, v192
	ds_write2_b32 v102, v42, v192 offset1:96
	v_lshrrev_b32_e32 v42, 16, v202
	s_waitcnt vmcnt(4)
	v_mul_f16_sdwa v192, v42, v187 dst_sel:DWORD dst_unused:UNUSED_PAD src0_sel:DWORD src1_sel:WORD_1
	v_fma_f16 v192, v202, v187, -v192
	v_mul_f16_sdwa v193, v202, v187 dst_sel:DWORD dst_unused:UNUSED_PAD src0_sel:DWORD src1_sel:WORD_1
	v_fma_f16 v42, v42, v187, v193
	v_pack_b32_f16 v43, v43, v44
	s_waitcnt lgkmcnt(12)
	v_sub_f16_e32 v44, v203, v192
	v_lshrrev_b32_e32 v192, 16, v203
	v_sub_f16_e32 v42, v192, v42
	v_pack_b32_f16 v193, v44, v42
	ds_write2_b32 v94, v43, v193 offset1:96
	v_fma_f16 v42, v192, 2.0, -v42
	s_waitcnt lgkmcnt(12)
	v_lshrrev_b32_e32 v43, 16, v205
	s_waitcnt vmcnt(3)
	v_mul_f16_sdwa v192, v205, v188 dst_sel:DWORD dst_unused:UNUSED_PAD src0_sel:DWORD src1_sel:WORD_1
	v_fma_f16 v192, v43, v188, v192
	v_mul_f16_sdwa v43, v43, v188 dst_sel:DWORD dst_unused:UNUSED_PAD src0_sel:DWORD src1_sel:WORD_1
	v_fma_f16 v43, v205, v188, -v43
	v_fma_f16 v44, v203, 2.0, -v44
	v_lshrrev_b32_e32 v193, 16, v204
	v_sub_f16_e32 v43, v204, v43
	v_pack_b32_f16 v42, v44, v42
	v_sub_f16_e32 v44, v193, v192
	v_fma_f16 v194, v204, 2.0, -v43
	v_fma_f16 v192, v193, 2.0, -v44
	v_pack_b32_f16 v192, v194, v192
	ds_write2_b32 v80, v42, v192 offset0:64 offset1:160
	v_lshrrev_b32_e32 v42, 16, v206
	s_waitcnt vmcnt(2)
	v_mul_f16_sdwa v192, v42, v189 dst_sel:DWORD dst_unused:UNUSED_PAD src0_sel:DWORD src1_sel:WORD_1
	v_fma_f16 v192, v206, v189, -v192
	v_mul_f16_sdwa v193, v206, v189 dst_sel:DWORD dst_unused:UNUSED_PAD src0_sel:DWORD src1_sel:WORD_1
	v_fma_f16 v42, v42, v189, v193
	v_pack_b32_f16 v43, v43, v44
	s_waitcnt lgkmcnt(12)
	v_sub_f16_e32 v44, v207, v192
	v_lshrrev_b32_e32 v192, 16, v207
	v_sub_f16_e32 v42, v192, v42
	v_pack_b32_f16 v193, v44, v42
	ds_write2_b32 v95, v43, v193 offset0:64 offset1:160
	v_fma_f16 v42, v192, 2.0, -v42
	s_waitcnt lgkmcnt(12)
	v_lshrrev_b32_e32 v43, 16, v209
	s_waitcnt vmcnt(1)
	v_mul_f16_sdwa v192, v209, v190 dst_sel:DWORD dst_unused:UNUSED_PAD src0_sel:DWORD src1_sel:WORD_1
	v_fma_f16 v192, v43, v190, v192
	v_mul_f16_sdwa v43, v43, v190 dst_sel:DWORD dst_unused:UNUSED_PAD src0_sel:DWORD src1_sel:WORD_1
	v_fma_f16 v43, v209, v190, -v43
	v_fma_f16 v44, v207, 2.0, -v44
	v_lshrrev_b32_e32 v193, 16, v208
	v_sub_f16_e32 v43, v208, v43
	v_pack_b32_f16 v42, v44, v42
	v_sub_f16_e32 v44, v193, v192
	v_fma_f16 v194, v208, 2.0, -v43
	v_fma_f16 v192, v193, 2.0, -v44
	v_pack_b32_f16 v192, v194, v192
	ds_write2_b32 v101, v42, v192 offset0:128 offset1:224
	v_lshrrev_b32_e32 v42, 16, v210
	s_waitcnt vmcnt(0)
	v_mul_f16_sdwa v192, v42, v191 dst_sel:DWORD dst_unused:UNUSED_PAD src0_sel:DWORD src1_sel:WORD_1
	v_mul_f16_sdwa v193, v210, v191 dst_sel:DWORD dst_unused:UNUSED_PAD src0_sel:DWORD src1_sel:WORD_1
	v_fma_f16 v192, v210, v191, -v192
	v_fma_f16 v42, v42, v191, v193
	v_lshrrev_b32_e32 v193, 16, v41
	v_sub_f16_e32 v192, v41, v192
	v_sub_f16_e32 v42, v193, v42
	v_fma_f16 v41, v41, 2.0, -v192
	v_pack_b32_f16 v43, v43, v44
	v_pack_b32_f16 v44, v192, v42
	v_fma_f16 v42, v193, 2.0, -v42
	v_pack_b32_f16 v41, v41, v42
	ds_write2_b32 v69, v43, v44 offset0:128 offset1:224
	ds_write_b32 v97, v41 offset:5376
	s_waitcnt lgkmcnt(0)
	s_barrier
	global_load_dword v194, v97, s[6:7]
	v_mov_b32_e32 v41, s7
	v_add_co_u32_e32 v43, vcc, s6, v97
	v_addc_co_u32_e32 v44, vcc, 0, v41, vcc
	v_add_co_u32_e32 v41, vcc, s18, v43
	v_addc_co_u32_e32 v42, vcc, 0, v44, vcc
	global_load_dword v198, v[41:42], off offset:3968
	v_add_co_u32_e32 v43, vcc, s19, v43
	v_addc_co_u32_e32 v44, vcc, 0, v44, vcc
	global_load_dword v199, v[43:44], off offset:256
	global_load_dword v200, v[43:44], off offset:640
	s_nop 0
	global_load_dword v111, v111, s[6:7]
	s_nop 0
	global_load_dword v201, v97, s[6:7] offset:384
	global_load_dword v203, v97, s[6:7] offset:1920
	;; [unrolled: 1-line block ×5, first 2 shown]
	ds_read2_b32 v[192:193], v97 offset1:96
	global_load_dword v206, v97, s[6:7] offset:2688
	global_load_dword v207, v97, s[6:7] offset:768
	;; [unrolled: 1-line block ×4, first 2 shown]
	global_load_dword v209, v[41:42], off offset:3200
	s_waitcnt lgkmcnt(0)
	v_lshrrev_b32_e32 v195, 16, v192
	s_waitcnt vmcnt(14)
	v_mul_f16_sdwa v196, v192, v194 dst_sel:DWORD dst_unused:UNUSED_PAD src0_sel:DWORD src1_sel:WORD_1
	v_fma_f16 v196, v195, v194, v196
	v_mul_f16_sdwa v195, v195, v194 dst_sel:DWORD dst_unused:UNUSED_PAD src0_sel:DWORD src1_sel:WORD_1
	v_fma_f16 v192, v192, v194, -v195
	v_pack_b32_f16 v192, v192, v196
	ds_write_b32 v97, v192
	ds_read2_b32 v[194:195], v98 offset0:128 offset1:224
	s_waitcnt lgkmcnt(0)
	v_lshrrev_b32_e32 v192, 16, v195
	s_waitcnt vmcnt(13)
	v_mul_f16_sdwa v196, v195, v198 dst_sel:DWORD dst_unused:UNUSED_PAD src0_sel:DWORD src1_sel:WORD_1
	v_fma_f16 v210, v192, v198, v196
	v_mul_f16_sdwa v192, v192, v198 dst_sel:DWORD dst_unused:UNUSED_PAD src0_sel:DWORD src1_sel:WORD_1
	v_fma_f16 v192, v195, v198, -v192
	ds_read2_b32 v[196:197], v74 offset0:64 offset1:160
	v_pack_b32_f16 v192, v192, v210
	global_load_dword v109, v109, s[6:7]
	s_nop 0
	global_load_dword v119, v119, s[6:7]
	s_nop 0
	;; [unrolled: 2-line block ×4, first 2 shown]
	global_load_dword v210, v[43:44], off offset:2944
	global_load_dword v212, v[43:44], off offset:2176
	;; [unrolled: 1-line block ×9, first 2 shown]
	s_waitcnt lgkmcnt(0)
	v_lshrrev_b32_e32 v195, 16, v196
	s_waitcnt vmcnt(25)
	v_mul_f16_sdwa v43, v196, v199 dst_sel:DWORD dst_unused:UNUSED_PAD src0_sel:DWORD src1_sel:WORD_1
	v_mul_f16_sdwa v44, v195, v199 dst_sel:DWORD dst_unused:UNUSED_PAD src0_sel:DWORD src1_sel:WORD_1
	v_fma_f16 v43, v195, v199, v43
	v_fma_f16 v44, v196, v199, -v44
	v_pack_b32_f16 v43, v44, v43
	v_add_u32_e32 v44, 0x1e00, v97
	ds_write2_b32 v44, v192, v43 offset0:96 offset1:192
	ds_read2_b32 v[43:44], v94 offset1:96
	v_lshrrev_b32_e32 v192, 16, v197
	s_waitcnt vmcnt(24)
	v_mul_f16_sdwa v195, v192, v200 dst_sel:DWORD dst_unused:UNUSED_PAD src0_sel:DWORD src1_sel:WORD_1
	v_mul_f16_sdwa v196, v197, v200 dst_sel:DWORD dst_unused:UNUSED_PAD src0_sel:DWORD src1_sel:WORD_1
	v_fma_f16 v195, v197, v200, -v195
	v_fma_f16 v192, v192, v200, v196
	s_waitcnt lgkmcnt(0)
	v_lshrrev_b32_e32 v196, 16, v43
	s_waitcnt vmcnt(23)
	v_mul_f16_sdwa v197, v43, v111 dst_sel:DWORD dst_unused:UNUSED_PAD src0_sel:DWORD src1_sel:WORD_1
	v_fma_f16 v197, v196, v111, v197
	v_mul_f16_sdwa v196, v196, v111 dst_sel:DWORD dst_unused:UNUSED_PAD src0_sel:DWORD src1_sel:WORD_1
	v_fma_f16 v43, v43, v111, -v196
	v_pack_b32_f16 v43, v43, v197
	v_pack_b32_f16 v111, v195, v192
	v_add_u32_e32 v192, 0x2200, v97
	ds_write2_b32 v192, v111, v43 offset0:32 offset1:128
	v_lshrrev_b32_e32 v43, 16, v193
	ds_read2_b32 v[195:196], v104 offset0:64 offset1:160
	s_waitcnt vmcnt(22)
	v_mul_f16_sdwa v111, v43, v201 dst_sel:DWORD dst_unused:UNUSED_PAD src0_sel:DWORD src1_sel:WORD_1
	v_mul_f16_sdwa v192, v193, v201 dst_sel:DWORD dst_unused:UNUSED_PAD src0_sel:DWORD src1_sel:WORD_1
	v_fma_f16 v111, v193, v201, -v111
	v_fma_f16 v220, v43, v201, v192
	ds_read2_b32 v[192:193], v86 offset0:128 offset1:224
	s_waitcnt lgkmcnt(1)
	v_lshrrev_b32_e32 v43, 16, v196
	s_waitcnt vmcnt(19)
	v_mul_f16_sdwa v197, v196, v204 dst_sel:DWORD dst_unused:UNUSED_PAD src0_sel:DWORD src1_sel:WORD_1
	v_fma_f16 v197, v43, v204, v197
	v_mul_f16_sdwa v43, v43, v204 dst_sel:DWORD dst_unused:UNUSED_PAD src0_sel:DWORD src1_sel:WORD_1
	v_fma_f16 v43, v196, v204, -v43
	s_waitcnt lgkmcnt(0)
	v_lshrrev_b32_e32 v198, 16, v192
	s_waitcnt vmcnt(18)
	v_mul_f16_sdwa v196, v192, v205 dst_sel:DWORD dst_unused:UNUSED_PAD src0_sel:DWORD src1_sel:WORD_1
	v_pack_b32_f16 v43, v43, v197
	v_fma_f16 v199, v198, v205, v196
	ds_read2_b32 v[196:197], v103 offset0:64 offset1:160
	v_mul_f16_sdwa v198, v198, v205 dst_sel:DWORD dst_unused:UNUSED_PAD src0_sel:DWORD src1_sel:WORD_1
	v_fma_f16 v192, v192, v205, -v198
	v_pack_b32_f16 v192, v192, v199
	ds_write2_b32 v86, v43, v192 offset0:32 offset1:128
	s_waitcnt lgkmcnt(1)
	v_lshrrev_b32_e32 v43, 16, v196
	v_mul_f16_sdwa v192, v196, v202 dst_sel:DWORD dst_unused:UNUSED_PAD src0_sel:DWORD src1_sel:WORD_1
	ds_read2_b32 v[198:199], v102 offset1:96
	v_fma_f16 v192, v43, v202, v192
	v_mul_f16_sdwa v43, v43, v202 dst_sel:DWORD dst_unused:UNUSED_PAD src0_sel:DWORD src1_sel:WORD_1
	v_fma_f16 v204, v196, v202, -v43
	v_lshrrev_b32_e32 v43, 16, v197
	s_waitcnt vmcnt(17)
	v_mul_f16_sdwa v196, v43, v206 dst_sel:DWORD dst_unused:UNUSED_PAD src0_sel:DWORD src1_sel:WORD_1
	global_load_dword v221, v97, s[6:7] offset:3072
	v_fma_f16 v205, v197, v206, -v196
	v_mul_f16_sdwa v196, v197, v206 dst_sel:DWORD dst_unused:UNUSED_PAD src0_sel:DWORD src1_sel:WORD_1
	v_fma_f16 v206, v43, v206, v196
	s_waitcnt lgkmcnt(0)
	v_lshrrev_b32_e32 v43, 16, v199
	s_waitcnt vmcnt(16)
	v_mul_f16_sdwa v200, v199, v208 dst_sel:DWORD dst_unused:UNUSED_PAD src0_sel:DWORD src1_sel:WORD_1
	v_fma_f16 v200, v43, v208, v200
	v_mul_f16_sdwa v43, v43, v208 dst_sel:DWORD dst_unused:UNUSED_PAD src0_sel:DWORD src1_sel:WORD_1
	v_fma_f16 v43, v199, v208, -v43
	global_load_dword v208, v[41:42], off offset:128
	ds_read2_b32 v[196:197], v80 offset0:64 offset1:160
	v_pack_b32_f16 v43, v43, v200
	v_pack_b32_f16 v111, v111, v220
	s_movk_i32 s6, 0x1ff
	s_movk_i32 s7, 0xffe
	s_waitcnt lgkmcnt(0)
	v_lshrrev_b32_e32 v201, 16, v196
	s_waitcnt vmcnt(16)
	v_mul_f16_sdwa v199, v196, v211 dst_sel:DWORD dst_unused:UNUSED_PAD src0_sel:DWORD src1_sel:WORD_1
	v_fma_f16 v202, v201, v211, v199
	ds_read2_b32 v[199:200], v101 offset0:128 offset1:224
	v_mul_f16_sdwa v201, v201, v211 dst_sel:DWORD dst_unused:UNUSED_PAD src0_sel:DWORD src1_sel:WORD_1
	v_fma_f16 v196, v196, v211, -v201
	v_pack_b32_f16 v196, v196, v202
	ds_write2_b32 v102, v43, v196 offset0:96 offset1:192
	s_waitcnt lgkmcnt(1)
	v_lshrrev_b32_e32 v43, 16, v199
	s_waitcnt vmcnt(11)
	v_mul_f16_sdwa v196, v199, v107 dst_sel:DWORD dst_unused:UNUSED_PAD src0_sel:DWORD src1_sel:WORD_1
	v_mul_f16_sdwa v41, v43, v107 dst_sel:DWORD dst_unused:UNUSED_PAD src0_sel:DWORD src1_sel:WORD_1
	v_fma_f16 v196, v43, v107, v196
	v_fma_f16 v107, v199, v107, -v41
	v_lshrrev_b32_e32 v43, 16, v200
	ds_read2_b32 v[41:42], v100 offset0:64 offset1:160
	s_waitcnt vmcnt(6)
	v_mul_f16_sdwa v199, v43, v215 dst_sel:DWORD dst_unused:UNUSED_PAD src0_sel:DWORD src1_sel:WORD_1
	v_fma_f16 v211, v200, v215, -v199
	v_mul_f16_sdwa v199, v200, v215 dst_sel:DWORD dst_unused:UNUSED_PAD src0_sel:DWORD src1_sel:WORD_1
	v_fma_f16 v215, v43, v215, v199
	ds_read2_b32 v[199:200], v77 offset1:96
	s_waitcnt lgkmcnt(1)
	v_lshrrev_b32_e32 v43, 16, v42
	s_waitcnt vmcnt(2)
	v_mul_f16_sdwa v201, v42, v219 dst_sel:DWORD dst_unused:UNUSED_PAD src0_sel:DWORD src1_sel:WORD_1
	v_fma_f16 v201, v43, v219, v201
	v_mul_f16_sdwa v43, v43, v219 dst_sel:DWORD dst_unused:UNUSED_PAD src0_sel:DWORD src1_sel:WORD_1
	v_fma_f16 v42, v42, v219, -v43
	v_pack_b32_f16 v201, v42, v201
	s_waitcnt lgkmcnt(0)
	v_lshrrev_b32_e32 v202, 16, v199
	v_mul_f16_sdwa v42, v199, v109 dst_sel:DWORD dst_unused:UNUSED_PAD src0_sel:DWORD src1_sel:WORD_1
	v_fma_f16 v219, v202, v109, v42
	ds_read2_b32 v[42:43], v99 offset0:64 offset1:160
	v_mul_f16_sdwa v202, v202, v109 dst_sel:DWORD dst_unused:UNUSED_PAD src0_sel:DWORD src1_sel:WORD_1
	v_fma_f16 v109, v199, v109, -v202
	v_pack_b32_f16 v109, v109, v219
	ds_write2_b32 v170, v201, v109 offset0:32 offset1:128
	s_waitcnt lgkmcnt(1)
	v_lshrrev_b32_e32 v109, 16, v42
	v_mul_f16_sdwa v199, v42, v217 dst_sel:DWORD dst_unused:UNUSED_PAD src0_sel:DWORD src1_sel:WORD_1
	v_fma_f16 v199, v109, v217, v199
	v_mul_f16_sdwa v109, v109, v217 dst_sel:DWORD dst_unused:UNUSED_PAD src0_sel:DWORD src1_sel:WORD_1
	v_fma_f16 v109, v42, v217, -v109
	v_lshrrev_b32_e32 v42, 16, v43
	v_mul_f16_sdwa v201, v42, v209 dst_sel:DWORD dst_unused:UNUSED_PAD src0_sel:DWORD src1_sel:WORD_1
	v_fma_f16 v217, v43, v209, -v201
	v_mul_f16_sdwa v43, v43, v209 dst_sel:DWORD dst_unused:UNUSED_PAD src0_sel:DWORD src1_sel:WORD_1
	v_lshrrev_b32_e32 v201, 16, v44
	v_fma_f16 v209, v42, v209, v43
	ds_read2_b32 v[42:43], v95 offset0:64 offset1:160
	v_mul_f16_sdwa v202, v201, v214 dst_sel:DWORD dst_unused:UNUSED_PAD src0_sel:DWORD src1_sel:WORD_1
	v_fma_f16 v219, v44, v214, -v202
	v_mul_f16_sdwa v44, v44, v214 dst_sel:DWORD dst_unused:UNUSED_PAD src0_sel:DWORD src1_sel:WORD_1
	v_fma_f16 v44, v201, v214, v44
	ds_read2_b32 v[201:202], v69 offset0:128 offset1:224
	s_waitcnt lgkmcnt(1)
	v_lshrrev_b32_e32 v214, 16, v43
	v_mul_f16_sdwa v222, v43, v212 dst_sel:DWORD dst_unused:UNUSED_PAD src0_sel:DWORD src1_sel:WORD_1
	v_fma_f16 v222, v214, v212, v222
	v_mul_f16_sdwa v214, v214, v212 dst_sel:DWORD dst_unused:UNUSED_PAD src0_sel:DWORD src1_sel:WORD_1
	v_fma_f16 v43, v43, v212, -v214
	s_waitcnt lgkmcnt(0)
	v_lshrrev_b32_e32 v212, 16, v201
	v_mul_f16_sdwa v214, v201, v119 dst_sel:DWORD dst_unused:UNUSED_PAD src0_sel:DWORD src1_sel:WORD_1
	v_fma_f16 v214, v212, v119, v214
	v_mul_f16_sdwa v212, v212, v119 dst_sel:DWORD dst_unused:UNUSED_PAD src0_sel:DWORD src1_sel:WORD_1
	v_fma_f16 v119, v201, v119, -v212
	v_pack_b32_f16 v43, v43, v222
	v_pack_b32_f16 v119, v119, v214
	ds_write2_b32 v69, v43, v119 offset0:32 offset1:128
	v_lshrrev_b32_e32 v43, 16, v195
	v_mul_f16_sdwa v119, v43, v207 dst_sel:DWORD dst_unused:UNUSED_PAD src0_sel:DWORD src1_sel:WORD_1
	v_fma_f16 v119, v195, v207, -v119
	v_mul_f16_sdwa v195, v195, v207 dst_sel:DWORD dst_unused:UNUSED_PAD src0_sel:DWORD src1_sel:WORD_1
	v_fma_f16 v43, v43, v207, v195
	v_pack_b32_f16 v43, v119, v43
	ds_write2_b32 v97, v111, v43 offset0:96 offset1:192
	v_lshrrev_b32_e32 v43, 16, v193
	v_mul_f16_sdwa v111, v43, v203 dst_sel:DWORD dst_unused:UNUSED_PAD src0_sel:DWORD src1_sel:WORD_1
	v_mul_f16_sdwa v119, v193, v203 dst_sel:DWORD dst_unused:UNUSED_PAD src0_sel:DWORD src1_sel:WORD_1
	v_fma_f16 v111, v193, v203, -v111
	v_fma_f16 v43, v43, v203, v119
	v_pack_b32_f16 v119, v204, v192
	v_pack_b32_f16 v43, v111, v43
	ds_write2_b32 v162, v43, v119 offset0:96 offset1:192
	v_lshrrev_b32_e32 v43, 16, v198
	s_waitcnt vmcnt(1)
	v_mul_f16_sdwa v111, v43, v221 dst_sel:DWORD dst_unused:UNUSED_PAD src0_sel:DWORD src1_sel:WORD_1
	v_mul_f16_sdwa v119, v198, v221 dst_sel:DWORD dst_unused:UNUSED_PAD src0_sel:DWORD src1_sel:WORD_1
	v_fma_f16 v111, v198, v221, -v111
	v_fma_f16 v43, v43, v221, v119
	v_pack_b32_f16 v119, v205, v206
	v_pack_b32_f16 v43, v111, v43
	ds_write2_b32 v106, v119, v43 offset0:32 offset1:128
	v_lshrrev_b32_e32 v43, 16, v197
	s_waitcnt vmcnt(0)
	v_mul_f16_sdwa v111, v43, v208 dst_sel:DWORD dst_unused:UNUSED_PAD src0_sel:DWORD src1_sel:WORD_1
	v_mul_f16_sdwa v119, v197, v208 dst_sel:DWORD dst_unused:UNUSED_PAD src0_sel:DWORD src1_sel:WORD_1
	v_fma_f16 v111, v197, v208, -v111
	v_fma_f16 v43, v43, v208, v119
	v_pack_b32_f16 v107, v107, v196
	v_pack_b32_f16 v43, v111, v43
	ds_write2_b32 v101, v43, v107 offset0:32 offset1:128
	v_lshrrev_b32_e32 v43, 16, v41
	v_mul_f16_sdwa v107, v43, v216 dst_sel:DWORD dst_unused:UNUSED_PAD src0_sel:DWORD src1_sel:WORD_1
	v_fma_f16 v107, v41, v216, -v107
	v_mul_f16_sdwa v41, v41, v216 dst_sel:DWORD dst_unused:UNUSED_PAD src0_sel:DWORD src1_sel:WORD_1
	v_fma_f16 v41, v43, v216, v41
	v_pack_b32_f16 v43, v211, v215
	v_pack_b32_f16 v41, v107, v41
	ds_write2_b32 v105, v43, v41 offset0:96 offset1:192
	v_lshrrev_b32_e32 v41, 16, v200
	v_mul_f16_sdwa v43, v41, v218 dst_sel:DWORD dst_unused:UNUSED_PAD src0_sel:DWORD src1_sel:WORD_1
	v_mul_f16_sdwa v107, v200, v218 dst_sel:DWORD dst_unused:UNUSED_PAD src0_sel:DWORD src1_sel:WORD_1
	v_fma_f16 v43, v200, v218, -v43
	v_fma_f16 v41, v41, v218, v107
	v_pack_b32_f16 v107, v109, v199
	v_pack_b32_f16 v41, v43, v41
	ds_write2_b32 v77, v41, v107 offset0:96 offset1:192
	v_lshrrev_b32_e32 v41, 16, v194
	v_mul_f16_sdwa v43, v41, v121 dst_sel:DWORD dst_unused:UNUSED_PAD src0_sel:DWORD src1_sel:WORD_1
	v_mul_f16_sdwa v107, v194, v121 dst_sel:DWORD dst_unused:UNUSED_PAD src0_sel:DWORD src1_sel:WORD_1
	v_fma_f16 v43, v194, v121, -v43
	v_fma_f16 v41, v41, v121, v107
	v_pack_b32_f16 v107, v217, v209
	v_pack_b32_f16 v41, v43, v41
	ds_write2_b32 v98, v107, v41 offset0:32 offset1:128
	v_lshrrev_b32_e32 v41, 16, v42
	v_mul_f16_sdwa v43, v41, v213 dst_sel:DWORD dst_unused:UNUSED_PAD src0_sel:DWORD src1_sel:WORD_1
	v_fma_f16 v43, v42, v213, -v43
	v_mul_f16_sdwa v42, v42, v213 dst_sel:DWORD dst_unused:UNUSED_PAD src0_sel:DWORD src1_sel:WORD_1
	v_fma_f16 v41, v41, v213, v42
	v_pack_b32_f16 v42, v219, v44
	v_pack_b32_f16 v41, v43, v41
	ds_write2_b32 v94, v42, v41 offset0:96 offset1:192
	v_lshrrev_b32_e32 v41, 16, v202
	v_mul_f16_sdwa v42, v41, v210 dst_sel:DWORD dst_unused:UNUSED_PAD src0_sel:DWORD src1_sel:WORD_1
	v_mul_f16_sdwa v43, v202, v210 dst_sel:DWORD dst_unused:UNUSED_PAD src0_sel:DWORD src1_sel:WORD_1
	v_fma_f16 v42, v202, v210, -v42
	v_fma_f16 v41, v41, v210, v43
	v_pack_b32_f16 v41, v42, v41
	ds_write_b32 v97, v41 offset:11136
	s_waitcnt lgkmcnt(0)
	s_barrier
	ds_read2_b32 v[41:42], v99 offset0:64 offset1:160
	ds_read2_b32 v[43:44], v94 offset1:96
	ds_read2_b32 v[192:193], v103 offset0:64 offset1:160
	ds_read2_b32 v[194:195], v101 offset0:128 offset1:224
	ds_read2_b32 v[196:197], v97 offset1:96
	s_waitcnt lgkmcnt(3)
	v_sub_f16_e32 v107, v41, v43
	s_waitcnt lgkmcnt(2)
	v_sub_f16_sdwa v111, v192, v43 dst_sel:DWORD dst_unused:UNUSED_PAD src0_sel:WORD_1 src1_sel:WORD_1
	s_waitcnt lgkmcnt(1)
	v_sub_f16_e32 v109, v194, v192
	v_add_f16_e32 v107, v109, v107
	v_add_f16_e32 v109, v192, v43
	s_waitcnt lgkmcnt(0)
	v_fma_f16 v109, v109, -0.5, v196
	v_sub_f16_sdwa v119, v194, v41 dst_sel:DWORD dst_unused:UNUSED_PAD src0_sel:WORD_1 src1_sel:WORD_1
	v_fma_f16 v121, v119, s13, v109
	v_fma_f16 v109, v119, s15, v109
	;; [unrolled: 1-line block ×6, first 2 shown]
	v_sub_f16_sdwa v109, v194, v192 dst_sel:DWORD dst_unused:UNUSED_PAD src0_sel:WORD_1 src1_sel:WORD_1
	v_sub_f16_sdwa v198, v41, v43 dst_sel:DWORD dst_unused:UNUSED_PAD src0_sel:WORD_1 src1_sel:WORD_1
	v_add_f16_e32 v109, v109, v198
	v_lshrrev_b32_e32 v210, 16, v196
	v_add_f16_sdwa v198, v192, v43 dst_sel:DWORD dst_unused:UNUSED_PAD src0_sel:WORD_1 src1_sel:WORD_1
	v_fma_f16 v198, v198, -0.5, v210
	v_sub_f16_e32 v223, v194, v41
	v_sub_f16_e32 v222, v192, v43
	v_fma_f16 v199, v223, s15, v198
	v_fma_f16 v199, v222, s12, v199
	v_fma_f16 v224, v109, s14, v199
	v_fma_f16 v206, v223, s13, v198
	ds_read2_b32 v[198:199], v98 offset0:128 offset1:224
	ds_read2_b32 v[200:201], v95 offset0:64 offset1:160
	ds_read2_b32 v[202:203], v102 offset1:96
	ds_read2_b32 v[204:205], v100 offset0:64 offset1:160
	v_fma_f16 v206, v222, s16, v206
	v_fma_f16 v109, v109, s14, v206
	ds_read2_b32 v[206:207], v104 offset0:64 offset1:160
	s_waitcnt lgkmcnt(3)
	v_sub_f16_e32 v208, v199, v201
	s_waitcnt lgkmcnt(1)
	v_sub_f16_e32 v209, v205, v203
	v_add_f16_e32 v208, v209, v208
	v_add_f16_e32 v209, v203, v201
	s_waitcnt lgkmcnt(0)
	v_fma_f16 v209, v209, -0.5, v207
	v_sub_f16_sdwa v226, v205, v199 dst_sel:DWORD dst_unused:UNUSED_PAD src0_sel:WORD_1 src1_sel:WORD_1
	v_sub_f16_sdwa v225, v203, v201 dst_sel:DWORD dst_unused:UNUSED_PAD src0_sel:WORD_1 src1_sel:WORD_1
	v_fma_f16 v211, v226, s13, v209
	v_fma_f16 v209, v226, s15, v209
	;; [unrolled: 1-line block ×6, first 2 shown]
	v_sub_f16_sdwa v209, v205, v203 dst_sel:DWORD dst_unused:UNUSED_PAD src0_sel:WORD_1 src1_sel:WORD_1
	v_sub_f16_sdwa v212, v199, v201 dst_sel:DWORD dst_unused:UNUSED_PAD src0_sel:WORD_1 src1_sel:WORD_1
	v_add_f16_e32 v209, v209, v212
	v_lshrrev_b32_e32 v212, 16, v207
	v_add_f16_sdwa v213, v203, v201 dst_sel:DWORD dst_unused:UNUSED_PAD src0_sel:WORD_1 src1_sel:WORD_1
	v_fma_f16 v213, v213, -0.5, v212
	v_sub_f16_e32 v228, v205, v199
	v_sub_f16_e32 v227, v203, v201
	v_fma_f16 v214, v228, s15, v213
	v_fma_f16 v214, v227, s12, v214
	;; [unrolled: 1-line block ×6, first 2 shown]
	v_mul_f16_e32 v213, 0xbb9c, v214
	v_fma_f16 v229, v211, s14, v213
	v_mul_f16_e32 v213, 0x34f2, v214
	v_fma_f16 v230, v211, s13, v213
	v_mul_f16_e32 v211, 0xbb9c, v209
	v_mul_f16_e32 v209, 0xb4f2, v209
	v_fma_f16 v231, v208, s2, v211
	v_fma_f16 v232, v208, s13, v209
	v_add_f16_e32 v208, v107, v231
	v_add_f16_e32 v209, v109, v232
	v_pack_b32_f16 v209, v208, v209
	v_add_f16_e32 v208, v121, v229
	v_add_f16_e32 v211, v224, v230
	v_pack_b32_f16 v208, v208, v211
	v_sub_f16_e32 v211, v43, v41
	v_sub_f16_e32 v213, v192, v194
	v_add_f16_e32 v233, v213, v211
	v_add_f16_sdwa v211, v194, v41 dst_sel:DWORD dst_unused:UNUSED_PAD src0_sel:WORD_1 src1_sel:WORD_1
	v_fma_f16 v234, v211, -0.5, v210
	v_sub_f16_sdwa v210, v192, v194 dst_sel:DWORD dst_unused:UNUSED_PAD src0_sel:WORD_1 src1_sel:WORD_1
	v_sub_f16_sdwa v211, v43, v41 dst_sel:DWORD dst_unused:UNUSED_PAD src0_sel:WORD_1 src1_sel:WORD_1
	v_add_f16_e32 v235, v210, v211
	v_sub_f16_e32 v210, v201, v199
	v_sub_f16_e32 v211, v203, v205
	v_add_f16_e32 v236, v211, v210
	v_add_f16_sdwa v210, v205, v199 dst_sel:DWORD dst_unused:UNUSED_PAD src0_sel:WORD_1 src1_sel:WORD_1
	v_fma_f16 v237, v210, -0.5, v212
	v_sub_f16_sdwa v210, v203, v205 dst_sel:DWORD dst_unused:UNUSED_PAD src0_sel:WORD_1 src1_sel:WORD_1
	v_sub_f16_sdwa v211, v201, v199 dst_sel:DWORD dst_unused:UNUSED_PAD src0_sel:WORD_1 src1_sel:WORD_1
	v_add_f16_e32 v238, v210, v211
	v_add_f16_e32 v210, v205, v199
	v_fma_f16 v239, v210, -0.5, v207
	v_fma_f16 v211, v227, s13, v237
	v_fma_f16 v210, v225, s15, v239
	;; [unrolled: 1-line block ×6, first 2 shown]
	v_mul_f16_e32 v212, 0xb8b4, v211
	v_fma_f16 v240, v210, s17, v212
	v_mul_f16_e32 v210, 0x38b4, v210
	v_pk_add_f16 v192, v196, v192
	v_fma_f16 v241, v211, s17, v210
	v_add_f16_e32 v210, v194, v41
	v_pk_add_f16 v192, v192, v194
	v_fma_f16 v242, v210, -0.5, v196
	v_pk_add_f16 v41, v192, v41
	v_fma_f16 v210, v111, s15, v242
	v_pk_add_f16 v41, v41, v43
	v_fma_f16 v43, v222, s13, v234
	;; [unrolled: 2-line block ×3, first 2 shown]
	v_fma_f16 v43, v223, s12, v43
	v_pk_add_f16 v192, v192, v205
	v_fma_f16 v243, v233, s14, v210
	v_fma_f16 v43, v235, s14, v43
	v_pk_add_f16 v192, v192, v199
	v_pk_add_f16 v192, v192, v201
	v_add_f16_e32 v194, v243, v240
	v_add_f16_e32 v196, v43, v241
	v_pack_b32_f16 v211, v194, v196
	v_pk_add_f16 v210, v41, v192
	v_sub_f16_e32 v194, v243, v240
	v_sub_f16_e32 v121, v121, v229
	;; [unrolled: 1-line block ×4, first 2 shown]
	ds_read2_b32 v[212:213], v86 offset0:128 offset1:224
	ds_read2_b32 v[214:215], v80 offset0:64 offset1:160
	ds_read2_b32 v[216:217], v77 offset1:96
	ds_read2_b32 v[218:219], v74 offset0:64 offset1:160
	ds_read2_b32 v[220:221], v69 offset0:128 offset1:224
	s_waitcnt lgkmcnt(0)
	s_barrier
	ds_write2_b64 v112, v[210:211], v[208:209] offset1:1
	v_pack_b32_f16 v208, v121, v196
	v_pack_b32_f16 v207, v194, v43
	v_fma_f16 v43, v111, s13, v242
	v_fma_f16 v121, v227, s15, v237
	;; [unrolled: 1-line block ×10, first 2 shown]
	v_mul_f16_e32 v194, 0xb8b4, v121
	v_mul_f16_e32 v121, 0xba79, v121
	v_fma_f16 v43, v233, s14, v43
	v_fma_f16 v111, v235, s14, v111
	;; [unrolled: 1-line block ×4, first 2 shown]
	v_pk_add_f16 v210, v41, v192 neg_lo:[0,1] neg_hi:[0,1]
	v_add_f16_e32 v41, v43, v194
	v_add_f16_e32 v121, v111, v119
	v_pack_b32_f16 v209, v41, v121
	v_sub_f16_e32 v41, v107, v231
	v_sub_f16_e32 v107, v109, v232
	ds_write2_b64 v112, v[209:210], v[207:208] offset0:2 offset1:3
	v_sub_f16_e32 v43, v43, v194
	v_sub_f16_e32 v109, v111, v119
	v_pack_b32_f16 v207, v41, v107
	v_pk_add_f16 v41, v197, v193
	v_pack_b32_f16 v208, v43, v109
	v_pk_add_f16 v41, v41, v195
	ds_write_b64 v112, v[207:208] offset:32
	v_add_f16_e32 v43, v195, v42
	v_sub_f16_sdwa v107, v195, v42 dst_sel:DWORD dst_unused:UNUSED_PAD src0_sel:WORD_1 src1_sel:WORD_1
	v_sub_f16_e32 v109, v193, v195
	v_sub_f16_e32 v111, v195, v193
	v_add_f16_sdwa v112, v195, v42 dst_sel:DWORD dst_unused:UNUSED_PAD src0_sel:WORD_1 src1_sel:WORD_1
	v_sub_f16_e32 v119, v195, v42
	v_sub_f16_sdwa v121, v193, v195 dst_sel:DWORD dst_unused:UNUSED_PAD src0_sel:WORD_1 src1_sel:WORD_1
	v_sub_f16_sdwa v192, v195, v193 dst_sel:DWORD dst_unused:UNUSED_PAD src0_sel:WORD_1 src1_sel:WORD_1
	v_add_f16_e32 v195, v193, v44
	v_pk_add_f16 v41, v41, v42
	v_sub_f16_sdwa v194, v193, v44 dst_sel:DWORD dst_unused:UNUSED_PAD src0_sel:WORD_1 src1_sel:WORD_1
	v_sub_f16_e32 v196, v193, v44
	v_add_f16_sdwa v193, v193, v44 dst_sel:DWORD dst_unused:UNUSED_PAD src0_sel:WORD_1 src1_sel:WORD_1
	v_sub_f16_e32 v199, v44, v42
	v_sub_f16_e32 v201, v42, v44
	v_sub_f16_sdwa v203, v44, v42 dst_sel:DWORD dst_unused:UNUSED_PAD src0_sel:WORD_1 src1_sel:WORD_1
	v_sub_f16_sdwa v42, v42, v44 dst_sel:DWORD dst_unused:UNUSED_PAD src0_sel:WORD_1 src1_sel:WORD_1
	v_pk_add_f16 v205, v41, v44
	v_fma_f16 v44, v195, -0.5, v197
	v_add_f16_e32 v41, v111, v201
	v_fma_f16 v111, v107, s13, v44
	v_fma_f16 v44, v107, s15, v44
	;; [unrolled: 1-line block ×4, first 2 shown]
	v_fma_f16 v201, v43, -0.5, v197
	v_lshrrev_b32_e32 v43, 16, v197
	v_fma_f16 v111, v41, s14, v111
	v_fma_f16 v195, v41, s14, v44
	v_add_f16_e32 v41, v192, v42
	v_fma_f16 v42, v193, -0.5, v43
	v_fma_f16 v44, v119, s15, v42
	v_fma_f16 v42, v119, s13, v42
	;; [unrolled: 1-line block ×6, first 2 shown]
	v_sub_f16_e32 v41, v218, v220
	v_sub_f16_e32 v42, v216, v214
	v_add_f16_e32 v41, v42, v41
	v_add_f16_e32 v42, v214, v220
	v_fma_f16 v42, v42, -0.5, v212
	v_sub_f16_sdwa v207, v216, v218 dst_sel:DWORD dst_unused:UNUSED_PAD src0_sel:WORD_1 src1_sel:WORD_1
	v_sub_f16_sdwa v197, v214, v220 dst_sel:DWORD dst_unused:UNUSED_PAD src0_sel:WORD_1 src1_sel:WORD_1
	v_fma_f16 v44, v207, s13, v42
	v_fma_f16 v42, v207, s15, v42
	;; [unrolled: 1-line block ×6, first 2 shown]
	v_sub_f16_sdwa v42, v216, v214 dst_sel:DWORD dst_unused:UNUSED_PAD src0_sel:WORD_1 src1_sel:WORD_1
	v_sub_f16_sdwa v208, v218, v220 dst_sel:DWORD dst_unused:UNUSED_PAD src0_sel:WORD_1 src1_sel:WORD_1
	v_add_f16_e32 v42, v42, v208
	v_lshrrev_b32_e32 v208, 16, v212
	v_add_f16_sdwa v209, v214, v220 dst_sel:DWORD dst_unused:UNUSED_PAD src0_sel:WORD_1 src1_sel:WORD_1
	v_fma_f16 v209, v209, -0.5, v208
	v_sub_f16_e32 v211, v216, v218
	v_sub_f16_e32 v210, v214, v220
	v_fma_f16 v222, v211, s15, v209
	v_fma_f16 v222, v210, s12, v222
	;; [unrolled: 1-line block ×6, first 2 shown]
	v_mul_f16_e32 v209, 0xbb9c, v222
	v_mul_f16_e32 v222, 0x34f2, v222
	v_fma_f16 v209, v44, s14, v209
	v_fma_f16 v222, v44, s13, v222
	v_mul_f16_e32 v44, 0xbb9c, v42
	v_mul_f16_e32 v42, 0xb4f2, v42
	v_fma_f16 v223, v41, s2, v44
	v_fma_f16 v224, v41, s13, v42
	v_add_f16_e32 v41, v195, v223
	v_add_f16_e32 v42, v193, v224
	v_pack_b32_f16 v42, v41, v42
	v_add_f16_e32 v41, v111, v209
	v_add_f16_e32 v44, v192, v222
	v_pack_b32_f16 v41, v41, v44
	v_fma_f16 v112, v112, -0.5, v43
	v_sub_f16_e32 v43, v220, v218
	v_sub_f16_e32 v44, v214, v216
	v_add_f16_e32 v109, v109, v199
	v_add_f16_e32 v199, v44, v43
	v_add_f16_sdwa v43, v216, v218 dst_sel:DWORD dst_unused:UNUSED_PAD src0_sel:WORD_1 src1_sel:WORD_1
	v_add_f16_e32 v121, v121, v203
	v_fma_f16 v203, v43, -0.5, v208
	v_sub_f16_sdwa v43, v214, v216 dst_sel:DWORD dst_unused:UNUSED_PAD src0_sel:WORD_1 src1_sel:WORD_1
	v_sub_f16_sdwa v44, v220, v218 dst_sel:DWORD dst_unused:UNUSED_PAD src0_sel:WORD_1 src1_sel:WORD_1
	v_add_f16_e32 v208, v43, v44
	v_add_f16_e32 v43, v216, v218
	v_fma_f16 v225, v43, -0.5, v212
	v_fma_f16 v44, v210, s13, v203
	v_fma_f16 v43, v197, s15, v225
	;; [unrolled: 1-line block ×6, first 2 shown]
	v_mul_f16_e32 v226, 0xb8b4, v44
	v_fma_f16 v226, v43, s17, v226
	v_mul_f16_e32 v43, 0x38b4, v43
	v_fma_f16 v227, v44, s17, v43
	v_fma_f16 v43, v194, s15, v201
	;; [unrolled: 1-line block ×7, first 2 shown]
	v_pk_add_f16 v43, v212, v214
	v_pk_add_f16 v43, v43, v216
	;; [unrolled: 1-line block ×4, first 2 shown]
	v_add_f16_e32 v43, v228, v226
	v_add_f16_e32 v44, v229, v227
	v_pack_b32_f16 v44, v43, v44
	v_pk_add_f16 v43, v205, v212
	ds_write2_b64 v113, v[43:44], v[41:42] offset1:1
	v_sub_f16_e32 v41, v228, v226
	v_sub_f16_e32 v43, v229, v227
	v_pack_b32_f16 v41, v41, v43
	v_fma_f16 v43, v194, s13, v201
	v_fma_f16 v43, v107, s12, v43
	v_sub_f16_e32 v42, v111, v209
	v_sub_f16_e32 v44, v192, v222
	v_fma_f16 v107, v109, s14, v43
	v_fma_f16 v43, v196, s15, v112
	v_pack_b32_f16 v42, v42, v44
	v_fma_f16 v43, v119, s16, v43
	v_fma_f16 v44, v210, s15, v203
	;; [unrolled: 1-line block ×8, first 2 shown]
	v_mul_f16_e32 v111, 0xb8b4, v44
	v_mul_f16_e32 v44, 0xba79, v44
	v_fma_f16 v111, v43, s3, v111
	v_fma_f16 v112, v43, s12, v44
	v_add_f16_e32 v43, v107, v111
	v_add_f16_e32 v119, v109, v112
	v_pk_add_f16 v44, v205, v212 neg_lo:[0,1] neg_hi:[0,1]
	v_pack_b32_f16 v43, v43, v119
	ds_write2_b64 v113, v[43:44], v[41:42] offset0:2 offset1:3
	v_sub_f16_e32 v41, v195, v223
	v_sub_f16_e32 v42, v107, v111
	;; [unrolled: 1-line block ×4, first 2 shown]
	v_pack_b32_f16 v42, v42, v44
	v_pack_b32_f16 v41, v41, v43
	ds_write_b64 v113, v[41:42] offset:32
	v_pk_add_f16 v41, v206, v202
	v_pk_add_f16 v41, v41, v204
	;; [unrolled: 1-line block ×3, first 2 shown]
	v_add_f16_e32 v42, v204, v198
	v_sub_f16_sdwa v107, v204, v198 dst_sel:DWORD dst_unused:UNUSED_PAD src0_sel:WORD_1 src1_sel:WORD_1
	v_add_f16_sdwa v109, v204, v198 dst_sel:DWORD dst_unused:UNUSED_PAD src0_sel:WORD_1 src1_sel:WORD_1
	v_sub_f16_e32 v111, v204, v198
	v_sub_f16_e32 v194, v200, v198
	;; [unrolled: 1-line block ×3, first 2 shown]
	v_sub_f16_sdwa v196, v200, v198 dst_sel:DWORD dst_unused:UNUSED_PAD src0_sel:WORD_1 src1_sel:WORD_1
	v_sub_f16_sdwa v197, v198, v200 dst_sel:DWORD dst_unused:UNUSED_PAD src0_sel:WORD_1 src1_sel:WORD_1
	v_pk_add_f16 v198, v41, v200
	v_pk_add_f16 v41, v213, v215
	;; [unrolled: 1-line block ×3, first 2 shown]
	v_sub_f16_e32 v44, v204, v202
	v_add_f16_e32 v121, v202, v200
	v_pk_add_f16 v41, v41, v219
	v_sub_f16_e32 v43, v202, v204
	v_sub_f16_sdwa v112, v202, v204 dst_sel:DWORD dst_unused:UNUSED_PAD src0_sel:WORD_1 src1_sel:WORD_1
	v_sub_f16_sdwa v113, v204, v202 dst_sel:DWORD dst_unused:UNUSED_PAD src0_sel:WORD_1 src1_sel:WORD_1
	;; [unrolled: 1-line block ×3, first 2 shown]
	v_sub_f16_e32 v192, v202, v200
	v_add_f16_sdwa v193, v202, v200 dst_sel:DWORD dst_unused:UNUSED_PAD src0_sel:WORD_1 src1_sel:WORD_1
	v_add_f16_e32 v199, v217, v219
	v_sub_f16_sdwa v200, v217, v219 dst_sel:DWORD dst_unused:UNUSED_PAD src0_sel:WORD_1 src1_sel:WORD_1
	v_sub_f16_e32 v201, v215, v217
	v_sub_f16_e32 v202, v217, v215
	v_add_f16_sdwa v203, v217, v219 dst_sel:DWORD dst_unused:UNUSED_PAD src0_sel:WORD_1 src1_sel:WORD_1
	v_sub_f16_e32 v204, v217, v219
	v_sub_f16_sdwa v205, v215, v217 dst_sel:DWORD dst_unused:UNUSED_PAD src0_sel:WORD_1 src1_sel:WORD_1
	v_sub_f16_sdwa v207, v217, v215 dst_sel:DWORD dst_unused:UNUSED_PAD src0_sel:WORD_1 src1_sel:WORD_1
	v_pk_add_f16 v217, v41, v221
	v_add_f16_e32 v41, v44, v195
	v_fma_f16 v44, v121, -0.5, v206
	v_fma_f16 v121, v107, s13, v44
	v_fma_f16 v44, v107, s15, v44
	;; [unrolled: 1-line block ×4, first 2 shown]
	v_lshrrev_b32_e32 v44, 16, v206
	v_fma_f16 v121, v119, s16, v121
	v_fma_f16 v218, v42, -0.5, v206
	v_fma_f16 v42, v193, -0.5, v44
	v_fma_f16 v121, v41, s14, v121
	v_add_f16_e32 v41, v113, v197
	v_fma_f16 v113, v111, s15, v42
	v_fma_f16 v42, v111, s13, v42
	v_add_f16_e32 v209, v215, v221
	v_fma_f16 v42, v192, s16, v42
	v_sub_f16_e32 v214, v219, v221
	v_fma_f16 v113, v192, s12, v113
	v_fma_f16 v193, v41, s14, v42
	v_fma_f16 v42, v209, -0.5, v213
	v_sub_f16_sdwa v208, v215, v221 dst_sel:DWORD dst_unused:UNUSED_PAD src0_sel:WORD_1 src1_sel:WORD_1
	v_add_f16_sdwa v211, v215, v221 dst_sel:DWORD dst_unused:UNUSED_PAD src0_sel:WORD_1 src1_sel:WORD_1
	v_fma_f16 v113, v41, s14, v113
	v_add_f16_e32 v41, v202, v214
	v_fma_f16 v197, v200, s13, v42
	v_fma_f16 v42, v200, s15, v42
	v_lshrrev_b32_e32 v202, 16, v213
	v_sub_f16_e32 v212, v221, v219
	v_sub_f16_sdwa v216, v219, v221 dst_sel:DWORD dst_unused:UNUSED_PAD src0_sel:WORD_1 src1_sel:WORD_1
	v_fma_f16 v197, v208, s16, v197
	v_fma_f16 v42, v208, s12, v42
	v_fma_f16 v206, v211, -0.5, v202
	v_sub_f16_e32 v210, v215, v221
	v_fma_f16 v197, v41, s14, v197
	v_fma_f16 v41, v41, s14, v42
	v_add_f16_e32 v42, v207, v216
	v_fma_f16 v207, v204, s15, v206
	v_add_f16_e32 v112, v112, v196
	v_add_f16_e32 v196, v201, v212
	v_fma_f16 v201, v203, -0.5, v202
	v_sub_f16_sdwa v215, v221, v219 dst_sel:DWORD dst_unused:UNUSED_PAD src0_sel:WORD_1 src1_sel:WORD_1
	v_fma_f16 v199, v199, -0.5, v213
	v_fma_f16 v207, v210, s12, v207
	v_fma_f16 v206, v204, s13, v206
	v_fma_f16 v109, v109, -0.5, v44
	v_fma_f16 v44, v210, s13, v201
	v_fma_f16 v207, v42, s14, v207
	;; [unrolled: 1-line block ×3, first 2 shown]
	v_add_f16_e32 v194, v43, v194
	v_add_f16_e32 v202, v205, v215
	v_fma_f16 v43, v208, s15, v199
	v_fma_f16 v44, v204, s12, v44
	;; [unrolled: 1-line block ×3, first 2 shown]
	v_mul_f16_e32 v206, 0xbb9c, v207
	v_mul_f16_e32 v207, 0x34f2, v207
	v_fma_f16 v43, v200, s16, v43
	v_fma_f16 v44, v202, s14, v44
	v_fma_f16 v206, v197, s14, v206
	v_fma_f16 v197, v197, s13, v207
	v_mul_f16_e32 v207, 0xbb9c, v42
	v_mul_f16_e32 v42, 0xb4f2, v42
	v_fma_f16 v43, v196, s14, v43
	v_mul_f16_e32 v203, 0xb8b4, v44
	v_fma_f16 v207, v41, s2, v207
	v_fma_f16 v209, v41, s13, v42
	;; [unrolled: 1-line block ×3, first 2 shown]
	v_mul_f16_e32 v43, 0x38b4, v43
	v_add_f16_e32 v41, v195, v207
	v_add_f16_e32 v42, v193, v209
	v_fma_f16 v205, v44, s17, v43
	v_fma_f16 v43, v119, s15, v218
	v_pack_b32_f16 v42, v41, v42
	v_add_f16_e32 v41, v121, v206
	v_add_f16_e32 v211, v113, v197
	v_fma_f16 v43, v107, s16, v43
	v_pack_b32_f16 v41, v41, v211
	v_fma_f16 v211, v194, s14, v43
	v_fma_f16 v43, v192, s13, v109
	;; [unrolled: 1-line block ×4, first 2 shown]
	v_add_f16_e32 v43, v211, v203
	v_add_f16_e32 v44, v212, v205
	v_pack_b32_f16 v44, v43, v44
	v_pk_add_f16 v43, v198, v217
	ds_write2_b64 v115, v[43:44], v[41:42] offset1:1
	v_sub_f16_e32 v41, v211, v203
	v_sub_f16_e32 v43, v212, v205
	v_pack_b32_f16 v41, v41, v43
	v_fma_f16 v43, v119, s13, v218
	v_fma_f16 v43, v107, s12, v43
	v_sub_f16_e32 v42, v121, v206
	v_sub_f16_e32 v44, v113, v197
	v_fma_f16 v107, v194, s14, v43
	v_fma_f16 v43, v192, s15, v109
	v_pack_b32_f16 v42, v42, v44
	v_fma_f16 v43, v111, s16, v43
	v_fma_f16 v44, v210, s15, v201
	;; [unrolled: 1-line block ×8, first 2 shown]
	v_mul_f16_e32 v111, 0xb8b4, v44
	v_mul_f16_e32 v44, 0xba79, v44
	v_fma_f16 v111, v43, s3, v111
	v_fma_f16 v112, v43, s12, v44
	v_add_f16_e32 v43, v107, v111
	v_add_f16_e32 v113, v109, v112
	v_pk_add_f16 v44, v198, v217 neg_lo:[0,1] neg_hi:[0,1]
	v_pack_b32_f16 v43, v43, v113
	ds_write2_b64 v115, v[43:44], v[41:42] offset0:2 offset1:3
	v_sub_f16_e32 v41, v195, v207
	v_sub_f16_e32 v42, v107, v111
	;; [unrolled: 1-line block ×4, first 2 shown]
	v_pack_b32_f16 v42, v42, v44
	v_pack_b32_f16 v41, v41, v43
	ds_write_b64 v115, v[41:42] offset:32
	s_waitcnt lgkmcnt(0)
	s_barrier
	ds_read2_b32 v[41:42], v86 offset0:128 offset1:224
	ds_read2_b32 v[43:44], v80 offset0:64 offset1:160
	;; [unrolled: 1-line block ×3, first 2 shown]
	s_mov_b32 s2, 0x16c16c17
	s_mov_b32 s3, 0x3f36c16c
	s_waitcnt lgkmcnt(2)
	v_lshrrev_b32_e32 v107, 16, v42
	v_mul_f16_sdwa v109, v0, v42 dst_sel:DWORD dst_unused:UNUSED_PAD src0_sel:WORD_1 src1_sel:DWORD
	v_fma_f16 v109, v0, v107, -v109
	v_mul_f16_sdwa v107, v0, v107 dst_sel:DWORD dst_unused:UNUSED_PAD src0_sel:WORD_1 src1_sel:DWORD
	v_fma_f16 v42, v0, v42, v107
	s_waitcnt lgkmcnt(1)
	v_lshrrev_b32_e32 v0, 16, v43
	v_mul_f16_sdwa v107, v1, v43 dst_sel:DWORD dst_unused:UNUSED_PAD src0_sel:WORD_1 src1_sel:DWORD
	v_fma_f16 v107, v1, v0, -v107
	v_mul_f16_sdwa v0, v1, v0 dst_sel:DWORD dst_unused:UNUSED_PAD src0_sel:WORD_1 src1_sel:DWORD
	v_fma_f16 v43, v1, v43, v0
	ds_read2_b32 v[0:1], v98 offset0:128 offset1:224
	s_waitcnt lgkmcnt(1)
	v_lshrrev_b32_e32 v113, 16, v112
	v_mul_f16_sdwa v115, v2, v112 dst_sel:DWORD dst_unused:UNUSED_PAD src0_sel:WORD_1 src1_sel:DWORD
	v_fma_f16 v115, v2, v113, -v115
	v_mul_f16_sdwa v113, v2, v113 dst_sel:DWORD dst_unused:UNUSED_PAD src0_sel:WORD_1 src1_sel:DWORD
	v_fma_f16 v112, v2, v112, v113
	s_waitcnt lgkmcnt(0)
	v_lshrrev_b32_e32 v2, 16, v0
	v_mul_f16_sdwa v113, v3, v0 dst_sel:DWORD dst_unused:UNUSED_PAD src0_sel:WORD_1 src1_sel:DWORD
	v_fma_f16 v113, v3, v2, -v113
	v_mul_f16_sdwa v2, v3, v2 dst_sel:DWORD dst_unused:UNUSED_PAD src0_sel:WORD_1 src1_sel:DWORD
	v_fma_f16 v119, v3, v0, v2
	v_lshrrev_b32_e32 v0, 16, v44
	v_mul_f16_sdwa v2, v21, v0 dst_sel:DWORD dst_unused:UNUSED_PAD src0_sel:WORD_1 src1_sel:DWORD
	v_fma_f16 v121, v21, v44, v2
	v_mul_f16_sdwa v2, v21, v44 dst_sel:DWORD dst_unused:UNUSED_PAD src0_sel:WORD_1 src1_sel:DWORD
	v_fma_f16 v21, v21, v0, -v2
	v_lshrrev_b32_e32 v0, 16, v1
	ds_read2_b32 v[2:3], v103 offset0:64 offset1:160
	v_mul_f16_sdwa v44, v23, v0 dst_sel:DWORD dst_unused:UNUSED_PAD src0_sel:WORD_1 src1_sel:DWORD
	v_fma_f16 v44, v23, v1, v44
	v_mul_f16_sdwa v1, v23, v1 dst_sel:DWORD dst_unused:UNUSED_PAD src0_sel:WORD_1 src1_sel:DWORD
	v_fma_f16 v23, v23, v0, -v1
	ds_read2_b32 v[0:1], v77 offset1:96
	s_waitcnt lgkmcnt(1)
	v_lshrrev_b32_e32 v192, 16, v2
	v_mul_f16_sdwa v193, v20, v2 dst_sel:DWORD dst_unused:UNUSED_PAD src0_sel:WORD_1 src1_sel:DWORD
	v_fma_f16 v193, v20, v192, -v193
	v_mul_f16_sdwa v192, v20, v192 dst_sel:DWORD dst_unused:UNUSED_PAD src0_sel:WORD_1 src1_sel:DWORD
	v_fma_f16 v20, v20, v2, v192
	s_waitcnt lgkmcnt(0)
	v_lshrrev_b32_e32 v2, 16, v0
	v_mul_f16_sdwa v192, v22, v0 dst_sel:DWORD dst_unused:UNUSED_PAD src0_sel:WORD_1 src1_sel:DWORD
	v_fma_f16 v192, v22, v2, -v192
	v_mul_f16_sdwa v2, v22, v2 dst_sel:DWORD dst_unused:UNUSED_PAD src0_sel:WORD_1 src1_sel:DWORD
	v_fma_f16 v22, v22, v0, v2
	v_lshrrev_b32_e32 v0, 16, v3
	v_mul_f16_sdwa v2, v16, v0 dst_sel:DWORD dst_unused:UNUSED_PAD src0_sel:WORD_1 src1_sel:DWORD
	v_fma_f16 v194, v16, v3, v2
	v_mul_f16_sdwa v2, v16, v3 dst_sel:DWORD dst_unused:UNUSED_PAD src0_sel:WORD_1 src1_sel:DWORD
	v_fma_f16 v195, v16, v0, -v2
	v_lshrrev_b32_e32 v0, 16, v1
	ds_read2_b32 v[2:3], v101 offset0:128 offset1:224
	v_mul_f16_sdwa v16, v18, v0 dst_sel:DWORD dst_unused:UNUSED_PAD src0_sel:WORD_1 src1_sel:DWORD
	v_fma_f16 v196, v18, v1, v16
	v_mul_f16_sdwa v1, v18, v1 dst_sel:DWORD dst_unused:UNUSED_PAD src0_sel:WORD_1 src1_sel:DWORD
	v_fma_f16 v18, v18, v0, -v1
	ds_read2_b32 v[0:1], v74 offset0:64 offset1:160
	s_waitcnt lgkmcnt(1)
	v_lshrrev_b32_e32 v16, 16, v2
	v_mul_f16_sdwa v197, v17, v2 dst_sel:DWORD dst_unused:UNUSED_PAD src0_sel:WORD_1 src1_sel:DWORD
	v_fma_f16 v197, v17, v16, -v197
	v_mul_f16_sdwa v16, v17, v16 dst_sel:DWORD dst_unused:UNUSED_PAD src0_sel:WORD_1 src1_sel:DWORD
	v_fma_f16 v198, v17, v2, v16
	s_waitcnt lgkmcnt(0)
	v_lshrrev_b32_e32 v2, 16, v0
	v_mul_f16_sdwa v16, v19, v0 dst_sel:DWORD dst_unused:UNUSED_PAD src0_sel:WORD_1 src1_sel:DWORD
	v_fma_f16 v199, v19, v2, -v16
	v_mul_f16_sdwa v2, v19, v2 dst_sel:DWORD dst_unused:UNUSED_PAD src0_sel:WORD_1 src1_sel:DWORD
	v_fma_f16 v19, v19, v0, v2
	v_lshrrev_b32_e32 v0, 16, v3
	v_mul_f16_sdwa v2, v13, v0 dst_sel:DWORD dst_unused:UNUSED_PAD src0_sel:WORD_1 src1_sel:DWORD
	v_fma_f16 v200, v13, v3, v2
	v_mul_f16_sdwa v2, v13, v3 dst_sel:DWORD dst_unused:UNUSED_PAD src0_sel:WORD_1 src1_sel:DWORD
	v_fma_f16 v201, v13, v0, -v2
	v_lshrrev_b32_e32 v0, 16, v1
	ds_read2_b32 v[2:3], v102 offset1:96
	v_mul_f16_sdwa v13, v15, v0 dst_sel:DWORD dst_unused:UNUSED_PAD src0_sel:WORD_1 src1_sel:DWORD
	v_fma_f16 v202, v15, v1, v13
	v_mul_f16_sdwa v1, v15, v1 dst_sel:DWORD dst_unused:UNUSED_PAD src0_sel:WORD_1 src1_sel:DWORD
	v_fma_f16 v203, v15, v0, -v1
	ds_read2_b32 v[15:16], v99 offset0:64 offset1:160
	s_waitcnt lgkmcnt(1)
	v_lshrrev_b32_e32 v0, 16, v2
	v_mul_f16_sdwa v1, v12, v2 dst_sel:DWORD dst_unused:UNUSED_PAD src0_sel:WORD_1 src1_sel:DWORD
	v_fma_f16 v204, v12, v0, -v1
	v_mul_f16_sdwa v0, v12, v0 dst_sel:DWORD dst_unused:UNUSED_PAD src0_sel:WORD_1 src1_sel:DWORD
	v_fma_f16 v205, v12, v2, v0
	s_waitcnt lgkmcnt(0)
	v_lshrrev_b32_e32 v0, 16, v15
	v_mul_f16_sdwa v1, v14, v15 dst_sel:DWORD dst_unused:UNUSED_PAD src0_sel:WORD_1 src1_sel:DWORD
	v_fma_f16 v206, v14, v0, -v1
	v_mul_f16_sdwa v0, v14, v0 dst_sel:DWORD dst_unused:UNUSED_PAD src0_sel:WORD_1 src1_sel:DWORD
	v_lshrrev_b32_e32 v1, 16, v3
	v_fma_f16 v207, v14, v15, v0
	v_mul_f16_sdwa v0, v8, v1 dst_sel:DWORD dst_unused:UNUSED_PAD src0_sel:WORD_1 src1_sel:DWORD
	ds_read2_b32 v[12:13], v94 offset1:96
	v_fma_f16 v0, v8, v3, v0
	v_mul_f16_sdwa v2, v8, v3 dst_sel:DWORD dst_unused:UNUSED_PAD src0_sel:WORD_1 src1_sel:DWORD
	v_lshrrev_b32_e32 v3, 16, v111
	v_fma_f16 v1, v8, v1, -v2
	v_mul_f16_sdwa v2, v9, v3 dst_sel:DWORD dst_unused:UNUSED_PAD src0_sel:WORD_1 src1_sel:DWORD
	v_mul_f16_sdwa v8, v9, v111 dst_sel:DWORD dst_unused:UNUSED_PAD src0_sel:WORD_1 src1_sel:DWORD
	v_fma_f16 v2, v9, v111, v2
	v_fma_f16 v8, v9, v3, -v8
	v_lshrrev_b32_e32 v9, 16, v16
	v_mul_f16_sdwa v3, v10, v9 dst_sel:DWORD dst_unused:UNUSED_PAD src0_sel:WORD_1 src1_sel:DWORD
	v_mul_f16_sdwa v14, v10, v16 dst_sel:DWORD dst_unused:UNUSED_PAD src0_sel:WORD_1 src1_sel:DWORD
	v_fma_f16 v3, v10, v16, v3
	v_fma_f16 v9, v10, v9, -v14
	s_waitcnt lgkmcnt(0)
	v_lshrrev_b32_e32 v10, 16, v12
	v_mul_f16_sdwa v14, v11, v12 dst_sel:DWORD dst_unused:UNUSED_PAD src0_sel:WORD_1 src1_sel:DWORD
	v_fma_f16 v111, v11, v10, -v14
	v_mul_f16_sdwa v10, v11, v10 dst_sel:DWORD dst_unused:UNUSED_PAD src0_sel:WORD_1 src1_sel:DWORD
	v_fma_f16 v208, v11, v12, v10
	ds_read2_b32 v[10:11], v97 offset1:96
	v_lshrrev_b32_e32 v12, 16, v13
	v_mul_f16_sdwa v14, v108, v12 dst_sel:DWORD dst_unused:UNUSED_PAD src0_sel:WORD_1 src1_sel:DWORD
	v_fma_f16 v14, v108, v13, v14
	v_mul_f16_sdwa v13, v108, v13 dst_sel:DWORD dst_unused:UNUSED_PAD src0_sel:WORD_1 src1_sel:DWORD
	v_fma_f16 v12, v108, v12, -v13
	s_waitcnt lgkmcnt(0)
	v_lshrrev_b32_e32 v13, 16, v10
	v_add_f16_e32 v15, v13, v107
	v_add_f16_e32 v108, v15, v113
	;; [unrolled: 1-line block ×3, first 2 shown]
	v_sub_f16_e32 v209, v107, v113
	v_fma_f16 v107, v15, -0.5, v13
	v_add_f16_e32 v13, v10, v43
	v_add_f16_e32 v15, v109, v115
	;; [unrolled: 1-line block ×4, first 2 shown]
	v_sub_f16_e32 v43, v43, v119
	v_add_f16_e32 v119, v15, v12
	v_sub_f16_e32 v210, v115, v12
	v_add_f16_e32 v12, v115, v12
	v_fma_f16 v109, v12, -0.5, v109
	v_add_f16_e32 v12, v112, v14
	v_fma_f16 v115, v12, -0.5, v42
	v_add_f16_e32 v12, v42, v112
	v_sub_f16_e32 v112, v112, v14
	v_add_f16_e32 v42, v12, v14
	v_fma_f16 v14, v112, s0, v109
	v_fma_f16 v109, v112, s1, v109
	;; [unrolled: 1-line block ×3, first 2 shown]
	v_mul_f16_e32 v15, 0xbaee, v14
	v_mul_f16_e32 v14, 0.5, v14
	v_fma_f16 v10, v13, -0.5, v10
	v_fma_f16 v215, v43, s0, v107
	v_fma_f16 v43, v43, s1, v107
	;; [unrolled: 1-line block ×3, first 2 shown]
	v_mul_f16_e32 v112, 0xbaee, v109
	v_mul_f16_e32 v109, -0.5, v109
	v_fma_f16 v211, v12, 0.5, v15
	v_fma_f16 v212, v12, s0, v14
	v_add_f16_e32 v12, v113, v42
	v_add_f16_e32 v14, v108, v119
	v_fma_f16 v214, v209, s1, v10
	v_fma_f16 v10, v209, s0, v10
	v_fma_f16 v112, v107, -0.5, v112
	v_fma_f16 v107, v107, s0, v109
	v_pack_b32_f16 v213, v12, v14
	v_add_f16_e32 v12, v214, v211
	v_add_f16_e32 v13, v215, v212
	v_sub_f16_e32 v42, v113, v42
	v_sub_f16_e32 v108, v108, v119
	v_add_f16_e32 v109, v10, v112
	v_add_f16_e32 v113, v43, v107
	v_pack_b32_f16 v216, v12, v13
	ds_read2_b32 v[12:13], v95 offset0:64 offset1:160
	ds_read2_b32 v[14:15], v104 offset0:64 offset1:160
	ds_read2_b32 v[16:17], v69 offset0:128 offset1:224
	v_pack_b32_f16 v109, v109, v113
	v_pack_b32_f16 v42, v42, v108
	s_waitcnt lgkmcnt(0)
	s_barrier
	ds_write2_b32 v116, v109, v42 offset0:20 offset1:30
	v_sub_f16_e32 v42, v214, v211
	v_sub_f16_e32 v10, v10, v112
	;; [unrolled: 1-line block ×4, first 2 shown]
	v_pack_b32_f16 v42, v42, v108
	v_pack_b32_f16 v10, v10, v43
	ds_write2_b32 v116, v42, v10 offset0:40 offset1:50
	v_lshrrev_b32_e32 v10, 16, v12
	v_mul_f16_sdwa v42, v118, v12 dst_sel:DWORD dst_unused:UNUSED_PAD src0_sel:WORD_1 src1_sel:DWORD
	v_fma_f16 v42, v118, v10, -v42
	v_mul_f16_sdwa v10, v118, v10 dst_sel:DWORD dst_unused:UNUSED_PAD src0_sel:WORD_1 src1_sel:DWORD
	v_lshrrev_b32_e32 v43, 16, v11
	v_fma_f16 v10, v118, v12, v10
	v_add_f16_e32 v12, v121, v44
	v_add_f16_e32 v107, v43, v21
	v_sub_f16_e32 v108, v21, v23
	v_add_f16_e32 v21, v21, v23
	v_fma_f16 v12, v12, -0.5, v11
	v_add_f16_e32 v11, v11, v121
	v_fma_f16 v21, v21, -0.5, v43
	v_add_f16_e32 v43, v193, v192
	v_add_f16_e32 v109, v22, v10
	;; [unrolled: 1-line block ×4, first 2 shown]
	v_sub_f16_e32 v23, v121, v44
	v_add_f16_e32 v43, v43, v42
	v_sub_f16_e32 v44, v192, v42
	v_add_f16_e32 v42, v192, v42
	v_fma_f16 v109, v109, -0.5, v20
	v_add_f16_e32 v20, v20, v22
	v_fma_f16 v42, v42, -0.5, v193
	v_add_f16_e32 v20, v20, v10
	v_sub_f16_e32 v10, v22, v10
	v_fma_f16 v112, v10, s0, v42
	v_fma_f16 v22, v44, s1, v109
	v_mul_f16_e32 v113, 0xbaee, v112
	v_mul_f16_e32 v112, 0.5, v112
	v_fma_f16 v10, v10, s1, v42
	ds_write2_b32 v116, v213, v216 offset1:10
	v_fma_f16 v113, v22, 0.5, v113
	v_fma_f16 v22, v22, s0, v112
	v_add_f16_e32 v112, v11, v20
	v_add_f16_e32 v115, v107, v43
	v_fma_f16 v116, v23, s0, v21
	v_fma_f16 v21, v23, s1, v21
	;; [unrolled: 1-line block ×3, first 2 shown]
	v_mul_f16_e32 v42, 0xbaee, v10
	v_mul_f16_e32 v10, -0.5, v10
	v_pack_b32_f16 v112, v112, v115
	v_fma_f16 v115, v108, s1, v12
	v_fma_f16 v12, v108, s0, v12
	v_fma_f16 v42, v23, -0.5, v42
	v_fma_f16 v10, v23, s0, v10
	v_sub_f16_e32 v11, v11, v20
	v_sub_f16_e32 v20, v107, v43
	v_add_f16_e32 v23, v12, v42
	v_add_f16_e32 v43, v21, v10
	v_pack_b32_f16 v23, v23, v43
	v_pack_b32_f16 v11, v11, v20
	ds_write2_b32 v122, v23, v11 offset0:20 offset1:30
	v_sub_f16_e32 v11, v115, v113
	v_sub_f16_e32 v12, v12, v42
	;; [unrolled: 1-line block ×4, first 2 shown]
	v_pack_b32_f16 v11, v11, v20
	v_pack_b32_f16 v10, v12, v10
	ds_write2_b32 v122, v11, v10 offset0:40 offset1:50
	v_lshrrev_b32_e32 v10, 16, v13
	v_mul_f16_sdwa v12, v117, v13 dst_sel:DWORD dst_unused:UNUSED_PAD src0_sel:WORD_1 src1_sel:DWORD
	v_mul_f16_sdwa v11, v117, v10 dst_sel:DWORD dst_unused:UNUSED_PAD src0_sel:WORD_1 src1_sel:DWORD
	v_fma_f16 v10, v117, v10, -v12
	v_add_f16_e32 v23, v195, v18
	v_fma_f16 v11, v117, v13, v11
	v_add_f16_e32 v23, v23, v10
	v_sub_f16_e32 v42, v18, v10
	v_add_f16_e32 v10, v18, v10
	v_add_f16_e32 v43, v194, v196
	v_lshrrev_b32_e32 v12, 16, v14
	v_add_f16_e32 v21, v197, v199
	v_fma_f16 v10, v10, -0.5, v195
	v_add_f16_e32 v18, v196, v11
	v_add_f16_e32 v43, v43, v11
	v_sub_f16_e32 v11, v196, v11
	v_add_f16_e32 v13, v12, v197
	v_fma_f16 v12, v21, -0.5, v12
	v_add_f16_e32 v21, v14, v198
	v_fma_f16 v18, v18, -0.5, v194
	v_fma_f16 v107, v11, s0, v10
	v_add_f16_e32 v119, v116, v22
	v_add_f16_e32 v13, v13, v199
	;; [unrolled: 1-line block ×4, first 2 shown]
	v_fma_f16 v44, v42, s1, v18
	v_mul_f16_e32 v108, 0xbaee, v107
	v_mul_f16_e32 v107, 0.5, v107
	v_fma_f16 v10, v11, s1, v10
	v_sub_f16_e32 v20, v197, v199
	v_sub_f16_e32 v19, v198, v19
	v_fma_f16 v108, v44, 0.5, v108
	v_fma_f16 v44, v44, s0, v107
	v_add_f16_e32 v107, v21, v43
	v_add_f16_e32 v109, v13, v23
	v_fma_f16 v14, v22, -0.5, v14
	v_fma_f16 v18, v42, s0, v18
	v_mul_f16_e32 v11, 0xbaee, v10
	v_mul_f16_e32 v10, -0.5, v10
	v_pack_b32_f16 v107, v107, v109
	v_fma_f16 v22, v20, s1, v14
	v_fma_f16 v109, v19, s0, v12
	;; [unrolled: 1-line block ×4, first 2 shown]
	v_fma_f16 v11, v18, -0.5, v11
	v_fma_f16 v10, v18, s0, v10
	v_add_f16_e32 v118, v115, v113
	v_sub_f16_e32 v18, v21, v43
	v_sub_f16_e32 v13, v13, v23
	v_add_f16_e32 v19, v14, v11
	v_add_f16_e32 v20, v12, v10
	v_pack_b32_f16 v118, v118, v119
	v_pack_b32_f16 v19, v19, v20
	;; [unrolled: 1-line block ×3, first 2 shown]
	ds_write2_b32 v122, v112, v118 offset1:10
	ds_write2_b32 v123, v19, v13 offset0:20 offset1:30
	v_sub_f16_e32 v13, v22, v108
	v_sub_f16_e32 v11, v14, v11
	;; [unrolled: 1-line block ×4, first 2 shown]
	v_pack_b32_f16 v12, v13, v14
	v_pack_b32_f16 v10, v11, v10
	ds_write2_b32 v123, v12, v10 offset0:40 offset1:50
	v_lshrrev_b32_e32 v10, 16, v16
	v_mul_f16_sdwa v11, v114, v16 dst_sel:DWORD dst_unused:UNUSED_PAD src0_sel:WORD_1 src1_sel:DWORD
	v_fma_f16 v11, v114, v10, -v11
	v_mul_f16_sdwa v10, v114, v10 dst_sel:DWORD dst_unused:UNUSED_PAD src0_sel:WORD_1 src1_sel:DWORD
	v_add_f16_e32 v19, v204, v206
	v_add_f16_e32 v112, v22, v108
	v_fma_f16 v10, v114, v16, v10
	v_add_f16_e32 v19, v19, v11
	v_sub_f16_e32 v20, v206, v11
	v_add_f16_e32 v11, v206, v11
	v_add_f16_e32 v22, v205, v207
	;; [unrolled: 1-line block ×3, first 2 shown]
	v_lshrrev_b32_e32 v13, 16, v15
	v_fma_f16 v11, v11, -0.5, v204
	v_add_f16_e32 v21, v207, v10
	v_add_f16_e32 v22, v22, v10
	v_sub_f16_e32 v10, v207, v10
	v_fma_f16 v12, v12, -0.5, v15
	v_add_f16_e32 v14, v15, v200
	v_add_f16_e32 v15, v13, v201
	v_fma_f16 v21, v21, -0.5, v205
	v_fma_f16 v42, v10, s0, v11
	v_add_f16_e32 v15, v15, v203
	v_add_f16_e32 v14, v14, v202
	v_fma_f16 v23, v20, s1, v21
	v_mul_f16_e32 v43, 0xbaee, v42
	v_mul_f16_e32 v42, 0.5, v42
	v_add_f16_e32 v113, v109, v44
	v_sub_f16_e32 v16, v201, v203
	v_add_f16_e32 v18, v201, v203
	v_fma_f16 v43, v23, 0.5, v43
	v_fma_f16 v23, v23, s0, v42
	v_add_f16_e32 v42, v14, v22
	v_add_f16_e32 v44, v15, v19
	v_fma_f16 v10, v10, s1, v11
	v_pack_b32_f16 v112, v112, v113
	v_fma_f16 v13, v18, -0.5, v13
	v_sub_f16_e32 v18, v200, v202
	v_pack_b32_f16 v42, v42, v44
	v_fma_f16 v44, v16, s1, v12
	v_fma_f16 v12, v16, s0, v12
	;; [unrolled: 1-line block ×3, first 2 shown]
	v_mul_f16_e32 v11, 0xbaee, v10
	v_mul_f16_e32 v10, -0.5, v10
	ds_write2_b32 v123, v107, v112 offset1:10
	v_fma_f16 v107, v18, s0, v13
	v_fma_f16 v13, v18, s1, v13
	v_fma_f16 v11, v16, -0.5, v11
	v_fma_f16 v10, v16, s0, v10
	v_sub_f16_e32 v14, v14, v22
	v_sub_f16_e32 v15, v15, v19
	v_add_f16_e32 v16, v12, v11
	v_add_f16_e32 v18, v13, v10
	v_pack_b32_f16 v16, v16, v18
	v_pack_b32_f16 v14, v14, v15
	ds_write2_b32 v124, v16, v14 offset0:20 offset1:30
	v_sub_f16_e32 v14, v44, v43
	v_sub_f16_e32 v11, v12, v11
	;; [unrolled: 1-line block ×4, first 2 shown]
	v_pack_b32_f16 v12, v14, v12
	v_pack_b32_f16 v10, v11, v10
	ds_write2_b32 v124, v12, v10 offset0:40 offset1:50
	v_lshrrev_b32_e32 v10, 16, v17
	v_mul_f16_sdwa v12, v110, v17 dst_sel:DWORD dst_unused:UNUSED_PAD src0_sel:WORD_1 src1_sel:DWORD
	v_lshrrev_b32_e32 v13, 16, v41
	v_mul_f16_sdwa v11, v110, v10 dst_sel:DWORD dst_unused:UNUSED_PAD src0_sel:WORD_1 src1_sel:DWORD
	v_fma_f16 v10, v110, v10, -v12
	v_add_f16_e32 v14, v41, v2
	v_add_f16_e32 v15, v13, v8
	v_sub_f16_e32 v16, v8, v111
	v_add_f16_e32 v8, v8, v111
	v_fma_f16 v11, v110, v17, v11
	v_fma_f16 v8, v8, -0.5, v13
	v_add_f16_e32 v13, v14, v208
	v_add_f16_e32 v14, v1, v9
	v_sub_f16_e32 v17, v9, v10
	v_add_f16_e32 v9, v9, v10
	v_fma_f16 v1, v9, -0.5, v1
	v_add_f16_e32 v9, v3, v11
	v_fma_f16 v9, v9, -0.5, v0
	v_add_f16_e32 v0, v0, v3
	v_sub_f16_e32 v3, v3, v11
	v_add_f16_e32 v0, v0, v11
	v_fma_f16 v11, v3, s0, v1
	v_add_f16_e32 v12, v2, v208
	v_add_f16_e32 v15, v15, v111
	;; [unrolled: 1-line block ×3, first 2 shown]
	v_fma_f16 v10, v17, s1, v9
	v_mul_f16_e32 v18, 0xbaee, v11
	v_mul_f16_e32 v11, 0.5, v11
	v_fma_f16 v12, v12, -0.5, v41
	v_sub_f16_e32 v2, v2, v208
	v_fma_f16 v18, v10, 0.5, v18
	v_fma_f16 v10, v10, s0, v11
	v_add_f16_e32 v11, v13, v0
	v_add_f16_e32 v19, v15, v14
	v_pack_b32_f16 v11, v11, v19
	v_fma_f16 v19, v16, s1, v12
	v_fma_f16 v20, v2, s0, v8
	v_add_f16_e32 v108, v44, v43
	v_add_f16_e32 v109, v107, v23
	;; [unrolled: 1-line block ×4, first 2 shown]
	v_fma_f16 v1, v3, s1, v1
	v_pack_b32_f16 v108, v108, v109
	v_pack_b32_f16 v21, v21, v22
	v_fma_f16 v2, v2, s1, v8
	v_fma_f16 v8, v17, s0, v9
	v_mul_f16_e32 v3, 0xbaee, v1
	v_mul_f16_e32 v1, -0.5, v1
	ds_write2_b32 v124, v42, v108 offset1:10
	ds_write2_b32 v125, v11, v21 offset1:10
	v_fma_f16 v11, v16, s0, v12
	v_fma_f16 v3, v8, -0.5, v3
	v_fma_f16 v1, v8, s0, v1
	v_sub_f16_e32 v0, v13, v0
	v_sub_f16_e32 v8, v15, v14
	v_add_f16_e32 v9, v11, v3
	v_add_f16_e32 v12, v2, v1
	v_pack_b32_f16 v9, v9, v12
	v_pack_b32_f16 v0, v0, v8
	ds_write2_b32 v125, v9, v0 offset0:20 offset1:30
	v_sub_f16_e32 v0, v19, v18
	v_sub_f16_e32 v3, v11, v3
	;; [unrolled: 1-line block ×4, first 2 shown]
	v_pack_b32_f16 v0, v0, v8
	v_pack_b32_f16 v1, v3, v1
	ds_write2_b32 v125, v0, v1 offset0:40 offset1:50
	s_waitcnt lgkmcnt(0)
	s_barrier
	ds_read2_b32 v[0:1], v86 offset0:128 offset1:224
	ds_read2_b32 v[2:3], v80 offset0:64 offset1:160
	s_mul_hi_u32 s12, s8, 0x900
	s_mul_i32 s13, s8, 0x900
	s_waitcnt lgkmcnt(1)
	v_lshrrev_b32_e32 v8, 16, v1
	v_mul_f16_sdwa v9, v4, v1 dst_sel:DWORD dst_unused:UNUSED_PAD src0_sel:WORD_1 src1_sel:DWORD
	v_fma_f16 v11, v4, v8, -v9
	v_mul_f16_sdwa v8, v4, v8 dst_sel:DWORD dst_unused:UNUSED_PAD src0_sel:WORD_1 src1_sel:DWORD
	v_fma_f16 v12, v4, v1, v8
	s_waitcnt lgkmcnt(0)
	v_lshrrev_b32_e32 v1, 16, v2
	ds_read2_b32 v[8:9], v100 offset0:64 offset1:160
	v_mul_f16_sdwa v4, v5, v2 dst_sel:DWORD dst_unused:UNUSED_PAD src0_sel:WORD_1 src1_sel:DWORD
	v_fma_f16 v13, v5, v1, -v4
	v_mul_f16_sdwa v1, v5, v1 dst_sel:DWORD dst_unused:UNUSED_PAD src0_sel:WORD_1 src1_sel:DWORD
	v_fma_f16 v14, v5, v2, v1
	ds_read2_b32 v[1:2], v98 offset0:128 offset1:224
	s_waitcnt lgkmcnt(1)
	v_lshrrev_b32_e32 v4, 16, v9
	v_mul_f16_sdwa v5, v6, v9 dst_sel:DWORD dst_unused:UNUSED_PAD src0_sel:WORD_1 src1_sel:DWORD
	v_fma_f16 v15, v6, v4, -v5
	v_mul_f16_sdwa v4, v6, v4 dst_sel:DWORD dst_unused:UNUSED_PAD src0_sel:WORD_1 src1_sel:DWORD
	v_fma_f16 v16, v6, v9, v4
	s_waitcnt lgkmcnt(0)
	v_lshrrev_b32_e32 v4, 16, v1
	v_mul_f16_sdwa v5, v7, v1 dst_sel:DWORD dst_unused:UNUSED_PAD src0_sel:WORD_1 src1_sel:DWORD
	v_fma_f16 v17, v7, v4, -v5
	v_mul_f16_sdwa v4, v7, v4 dst_sel:DWORD dst_unused:UNUSED_PAD src0_sel:WORD_1 src1_sel:DWORD
	v_fma_f16 v18, v7, v1, v4
	v_lshrrev_b32_e32 v1, 16, v3
	v_mul_f16_sdwa v4, v37, v1 dst_sel:DWORD dst_unused:UNUSED_PAD src0_sel:WORD_1 src1_sel:DWORD
	v_fma_f16 v19, v37, v3, v4
	v_mul_f16_sdwa v3, v37, v3 dst_sel:DWORD dst_unused:UNUSED_PAD src0_sel:WORD_1 src1_sel:DWORD
	v_fma_f16 v20, v37, v1, -v3
	v_lshrrev_b32_e32 v1, 16, v2
	ds_read2_b32 v[3:4], v103 offset0:64 offset1:160
	v_mul_f16_sdwa v5, v39, v1 dst_sel:DWORD dst_unused:UNUSED_PAD src0_sel:WORD_1 src1_sel:DWORD
	v_fma_f16 v21, v39, v2, v5
	v_mul_f16_sdwa v2, v39, v2 dst_sel:DWORD dst_unused:UNUSED_PAD src0_sel:WORD_1 src1_sel:DWORD
	v_fma_f16 v22, v39, v1, -v2
	ds_read2_b32 v[1:2], v77 offset1:96
	s_waitcnt lgkmcnt(1)
	v_lshrrev_b32_e32 v5, 16, v3
	v_mul_f16_sdwa v6, v36, v3 dst_sel:DWORD dst_unused:UNUSED_PAD src0_sel:WORD_1 src1_sel:DWORD
	v_fma_f16 v23, v36, v5, -v6
	v_mul_f16_sdwa v5, v36, v5 dst_sel:DWORD dst_unused:UNUSED_PAD src0_sel:WORD_1 src1_sel:DWORD
	v_fma_f16 v36, v36, v3, v5
	s_waitcnt lgkmcnt(0)
	v_lshrrev_b32_e32 v3, 16, v1
	v_mul_f16_sdwa v5, v38, v1 dst_sel:DWORD dst_unused:UNUSED_PAD src0_sel:WORD_1 src1_sel:DWORD
	v_fma_f16 v37, v38, v3, -v5
	v_mul_f16_sdwa v3, v38, v3 dst_sel:DWORD dst_unused:UNUSED_PAD src0_sel:WORD_1 src1_sel:DWORD
	v_fma_f16 v38, v38, v1, v3
	v_lshrrev_b32_e32 v1, 16, v4
	v_mul_f16_sdwa v3, v32, v1 dst_sel:DWORD dst_unused:UNUSED_PAD src0_sel:WORD_1 src1_sel:DWORD
	v_fma_f16 v39, v32, v4, v3
	v_mul_f16_sdwa v3, v32, v4 dst_sel:DWORD dst_unused:UNUSED_PAD src0_sel:WORD_1 src1_sel:DWORD
	v_fma_f16 v32, v32, v1, -v3
	v_lshrrev_b32_e32 v1, 16, v2
	ds_read2_b32 v[3:4], v101 offset0:128 offset1:224
	v_mul_f16_sdwa v5, v34, v1 dst_sel:DWORD dst_unused:UNUSED_PAD src0_sel:WORD_1 src1_sel:DWORD
	v_fma_f16 v41, v34, v2, v5
	v_mul_f16_sdwa v2, v34, v2 dst_sel:DWORD dst_unused:UNUSED_PAD src0_sel:WORD_1 src1_sel:DWORD
	v_fma_f16 v34, v34, v1, -v2
	ds_read2_b32 v[1:2], v74 offset0:64 offset1:160
	s_waitcnt lgkmcnt(1)
	v_lshrrev_b32_e32 v5, 16, v3
	v_mul_f16_sdwa v6, v33, v3 dst_sel:DWORD dst_unused:UNUSED_PAD src0_sel:WORD_1 src1_sel:DWORD
	v_fma_f16 v42, v33, v5, -v6
	v_mul_f16_sdwa v5, v33, v5 dst_sel:DWORD dst_unused:UNUSED_PAD src0_sel:WORD_1 src1_sel:DWORD
	v_fma_f16 v33, v33, v3, v5
	s_waitcnt lgkmcnt(0)
	v_lshrrev_b32_e32 v3, 16, v1
	v_mul_f16_sdwa v5, v35, v1 dst_sel:DWORD dst_unused:UNUSED_PAD src0_sel:WORD_1 src1_sel:DWORD
	v_fma_f16 v43, v35, v3, -v5
	v_mul_f16_sdwa v3, v35, v3 dst_sel:DWORD dst_unused:UNUSED_PAD src0_sel:WORD_1 src1_sel:DWORD
	v_fma_f16 v35, v35, v1, v3
	v_lshrrev_b32_e32 v1, 16, v4
	v_mul_f16_sdwa v3, v29, v1 dst_sel:DWORD dst_unused:UNUSED_PAD src0_sel:WORD_1 src1_sel:DWORD
	v_fma_f16 v44, v29, v4, v3
	v_mul_f16_sdwa v3, v29, v4 dst_sel:DWORD dst_unused:UNUSED_PAD src0_sel:WORD_1 src1_sel:DWORD
	v_fma_f16 v29, v29, v1, -v3
	v_lshrrev_b32_e32 v1, 16, v2
	ds_read2_b32 v[3:4], v102 offset1:96
	v_mul_f16_sdwa v5, v31, v1 dst_sel:DWORD dst_unused:UNUSED_PAD src0_sel:WORD_1 src1_sel:DWORD
	v_fma_f16 v107, v31, v2, v5
	ds_read2_b32 v[5:6], v99 offset0:64 offset1:160
	v_mul_f16_sdwa v2, v31, v2 dst_sel:DWORD dst_unused:UNUSED_PAD src0_sel:WORD_1 src1_sel:DWORD
	v_fma_f16 v31, v31, v1, -v2
	s_waitcnt lgkmcnt(1)
	v_lshrrev_b32_e32 v1, 16, v3
	v_mul_f16_sdwa v2, v28, v3 dst_sel:DWORD dst_unused:UNUSED_PAD src0_sel:WORD_1 src1_sel:DWORD
	v_fma_f16 v108, v28, v1, -v2
	v_mul_f16_sdwa v1, v28, v1 dst_sel:DWORD dst_unused:UNUSED_PAD src0_sel:WORD_1 src1_sel:DWORD
	v_fma_f16 v28, v28, v3, v1
	s_waitcnt lgkmcnt(0)
	v_lshrrev_b32_e32 v1, 16, v5
	v_mul_f16_sdwa v2, v30, v5 dst_sel:DWORD dst_unused:UNUSED_PAD src0_sel:WORD_1 src1_sel:DWORD
	v_fma_f16 v109, v30, v1, -v2
	v_mul_f16_sdwa v1, v30, v1 dst_sel:DWORD dst_unused:UNUSED_PAD src0_sel:WORD_1 src1_sel:DWORD
	v_lshrrev_b32_e32 v2, 16, v4
	v_fma_f16 v30, v30, v5, v1
	v_mul_f16_sdwa v1, v24, v2 dst_sel:DWORD dst_unused:UNUSED_PAD src0_sel:WORD_1 src1_sel:DWORD
	v_fma_f16 v1, v24, v4, v1
	v_mul_f16_sdwa v3, v24, v4 dst_sel:DWORD dst_unused:UNUSED_PAD src0_sel:WORD_1 src1_sel:DWORD
	v_lshrrev_b32_e32 v4, 16, v8
	v_fma_f16 v2, v24, v2, -v3
	v_mul_f16_sdwa v3, v25, v4 dst_sel:DWORD dst_unused:UNUSED_PAD src0_sel:WORD_1 src1_sel:DWORD
	v_fma_f16 v3, v25, v8, v3
	v_mul_f16_sdwa v5, v25, v8 dst_sel:DWORD dst_unused:UNUSED_PAD src0_sel:WORD_1 src1_sel:DWORD
	ds_read2_b32 v[7:8], v94 offset1:96
	v_lshrrev_b32_e32 v9, 16, v6
	v_fma_f16 v5, v25, v4, -v5
	v_mul_f16_sdwa v4, v26, v9 dst_sel:DWORD dst_unused:UNUSED_PAD src0_sel:WORD_1 src1_sel:DWORD
	v_fma_f16 v4, v26, v6, v4
	v_mul_f16_sdwa v6, v26, v6 dst_sel:DWORD dst_unused:UNUSED_PAD src0_sel:WORD_1 src1_sel:DWORD
	v_fma_f16 v6, v26, v9, -v6
	s_waitcnt lgkmcnt(0)
	v_lshrrev_b32_e32 v9, 16, v7
	v_mul_f16_sdwa v10, v27, v7 dst_sel:DWORD dst_unused:UNUSED_PAD src0_sel:WORD_1 src1_sel:DWORD
	v_fma_f16 v24, v27, v9, -v10
	v_mul_f16_sdwa v9, v27, v9 dst_sel:DWORD dst_unused:UNUSED_PAD src0_sel:WORD_1 src1_sel:DWORD
	v_fma_f16 v25, v27, v7, v9
	ds_read2_b32 v[9:10], v97 offset1:96
	v_lshrrev_b32_e32 v7, 16, v8
	v_mul_f16_sdwa v26, v120, v7 dst_sel:DWORD dst_unused:UNUSED_PAD src0_sel:WORD_1 src1_sel:DWORD
	v_fma_f16 v26, v120, v8, v26
	v_mul_f16_sdwa v8, v120, v8 dst_sel:DWORD dst_unused:UNUSED_PAD src0_sel:WORD_1 src1_sel:DWORD
	v_fma_f16 v7, v120, v7, -v8
	s_waitcnt lgkmcnt(0)
	v_lshrrev_b32_e32 v8, 16, v9
	v_add_f16_e32 v27, v8, v13
	v_sub_f16_e32 v110, v13, v17
	v_add_f16_e32 v13, v13, v17
	v_add_f16_e32 v27, v27, v17
	v_fma_f16 v17, v13, -0.5, v8
	v_add_f16_e32 v13, v11, v15
	v_add_f16_e32 v112, v13, v7
	v_sub_f16_e32 v113, v15, v7
	v_add_f16_e32 v7, v15, v7
	v_fma_f16 v15, v7, -0.5, v11
	v_add_f16_e32 v7, v16, v26
	v_add_f16_e32 v8, v9, v14
	v_fma_f16 v114, v7, -0.5, v12
	v_add_f16_e32 v7, v12, v16
	v_sub_f16_e32 v16, v16, v26
	v_add_f16_e32 v111, v8, v18
	v_add_f16_e32 v8, v14, v18
	v_sub_f16_e32 v18, v14, v18
	v_fma_f16 v11, v16, s0, v15
	v_fma_f16 v15, v16, s1, v15
	v_add_f16_e32 v115, v7, v26
	v_fma_f16 v7, v113, s1, v114
	v_mul_f16_e32 v12, 0xbaee, v11
	v_mul_f16_e32 v11, 0.5, v11
	v_fma_f16 v9, v8, -0.5, v9
	v_fma_f16 v119, v18, s0, v17
	v_fma_f16 v17, v18, s1, v17
	;; [unrolled: 1-line block ×3, first 2 shown]
	v_mul_f16_e32 v16, 0xbaee, v15
	v_mul_f16_e32 v15, -0.5, v15
	v_fma_f16 v26, v7, 0.5, v12
	v_fma_f16 v116, v7, s0, v11
	v_add_f16_e32 v7, v111, v115
	v_add_f16_e32 v11, v27, v112
	v_fma_f16 v118, v110, s1, v9
	v_fma_f16 v9, v110, s0, v9
	v_fma_f16 v16, v18, -0.5, v16
	v_fma_f16 v15, v18, s0, v15
	v_pack_b32_f16 v117, v7, v11
	v_add_f16_e32 v7, v118, v26
	v_add_f16_e32 v8, v119, v116
	v_sub_f16_e32 v18, v111, v115
	v_sub_f16_e32 v27, v27, v112
	v_add_f16_e32 v110, v9, v16
	v_add_f16_e32 v111, v17, v15
	v_pack_b32_f16 v120, v7, v8
	ds_read2_b32 v[7:8], v95 offset0:64 offset1:160
	ds_read2_b32 v[11:12], v104 offset0:64 offset1:160
	;; [unrolled: 1-line block ×3, first 2 shown]
	v_pack_b32_f16 v110, v110, v111
	v_pack_b32_f16 v18, v18, v27
	s_waitcnt lgkmcnt(0)
	s_barrier
	ds_write2_b32 v128, v110, v18 offset0:120 offset1:180
	v_sub_f16_e32 v18, v118, v26
	v_sub_f16_e32 v9, v9, v16
	;; [unrolled: 1-line block ×4, first 2 shown]
	v_pack_b32_f16 v16, v18, v16
	v_pack_b32_f16 v9, v9, v15
	ds_write2_b32 v129, v16, v9 offset0:112 offset1:172
	v_lshrrev_b32_e32 v9, 16, v7
	v_mul_f16_sdwa v15, v127, v7 dst_sel:DWORD dst_unused:UNUSED_PAD src0_sel:WORD_1 src1_sel:DWORD
	v_fma_f16 v15, v127, v9, -v15
	v_mul_f16_sdwa v9, v127, v9 dst_sel:DWORD dst_unused:UNUSED_PAD src0_sel:WORD_1 src1_sel:DWORD
	v_lshrrev_b32_e32 v16, 16, v10
	v_fma_f16 v7, v127, v7, v9
	v_add_f16_e32 v9, v19, v21
	v_add_f16_e32 v17, v16, v20
	v_sub_f16_e32 v18, v20, v22
	v_add_f16_e32 v20, v20, v22
	v_fma_f16 v9, v9, -0.5, v10
	v_add_f16_e32 v10, v10, v19
	v_fma_f16 v16, v20, -0.5, v16
	v_add_f16_e32 v20, v23, v37
	v_add_f16_e32 v10, v10, v21
	v_sub_f16_e32 v19, v19, v21
	v_add_f16_e32 v20, v20, v15
	v_sub_f16_e32 v21, v37, v15
	v_add_f16_e32 v15, v37, v15
	v_fma_f16 v15, v15, -0.5, v23
	v_add_f16_e32 v23, v36, v38
	v_add_f16_e32 v17, v17, v22
	;; [unrolled: 1-line block ×4, first 2 shown]
	v_sub_f16_e32 v7, v38, v7
	v_fma_f16 v22, v22, -0.5, v36
	v_fma_f16 v27, v7, s0, v15
	v_fma_f16 v26, v21, s1, v22
	v_mul_f16_e32 v36, 0xbaee, v27
	v_mul_f16_e32 v27, 0.5, v27
	v_fma_f16 v36, v26, 0.5, v36
	v_fma_f16 v26, v26, s0, v27
	v_add_f16_e32 v27, v10, v23
	v_add_f16_e32 v37, v17, v20
	v_fma_f16 v7, v7, s1, v15
	v_pack_b32_f16 v27, v27, v37
	v_fma_f16 v37, v18, s1, v9
	v_fma_f16 v9, v18, s0, v9
	;; [unrolled: 1-line block ×3, first 2 shown]
	v_mul_f16_e32 v15, 0xbaee, v7
	v_mul_f16_e32 v7, -0.5, v7
	v_fma_f16 v38, v19, s0, v16
	v_fma_f16 v16, v19, s1, v16
	v_fma_f16 v15, v18, -0.5, v15
	v_fma_f16 v7, v18, s0, v7
	v_sub_f16_e32 v10, v10, v23
	v_sub_f16_e32 v17, v17, v20
	v_add_f16_e32 v18, v9, v15
	v_add_f16_e32 v19, v16, v7
	v_pack_b32_f16 v18, v18, v19
	v_pack_b32_f16 v10, v10, v17
	ds_write2_b32 v128, v117, v120 offset1:60
	ds_write2_b32 v47, v18, v10 offset0:120 offset1:180
	v_sub_f16_e32 v10, v37, v36
	v_sub_f16_e32 v9, v9, v15
	;; [unrolled: 1-line block ×4, first 2 shown]
	v_pack_b32_f16 v10, v10, v15
	v_pack_b32_f16 v7, v9, v7
	ds_write2_b32 v49, v10, v7 offset0:112 offset1:172
	v_lshrrev_b32_e32 v7, 16, v8
	v_mul_f16_sdwa v9, v126, v7 dst_sel:DWORD dst_unused:UNUSED_PAD src0_sel:WORD_1 src1_sel:DWORD
	v_fma_f16 v9, v126, v8, v9
	v_mul_f16_sdwa v8, v126, v8 dst_sel:DWORD dst_unused:UNUSED_PAD src0_sel:WORD_1 src1_sel:DWORD
	v_fma_f16 v7, v126, v7, -v8
	v_add_f16_e32 v19, v32, v34
	v_add_f16_e32 v19, v19, v7
	v_sub_f16_e32 v20, v34, v7
	v_add_f16_e32 v7, v34, v7
	v_add_f16_e32 v22, v39, v41
	;; [unrolled: 1-line block ×4, first 2 shown]
	v_lshrrev_b32_e32 v8, 16, v11
	v_add_f16_e32 v16, v42, v43
	v_fma_f16 v7, v7, -0.5, v32
	v_add_f16_e32 v21, v41, v9
	v_add_f16_e32 v22, v22, v9
	v_sub_f16_e32 v9, v41, v9
	v_pack_b32_f16 v110, v110, v111
	v_add_f16_e32 v10, v8, v42
	v_fma_f16 v8, v16, -0.5, v8
	v_add_f16_e32 v16, v11, v33
	v_add_f16_e32 v17, v33, v35
	v_fma_f16 v21, v21, -0.5, v39
	v_fma_f16 v26, v9, s0, v7
	ds_write2_b32 v47, v27, v110 offset1:60
	v_add_f16_e32 v10, v10, v43
	v_sub_f16_e32 v15, v42, v43
	v_add_f16_e32 v16, v16, v35
	v_fma_f16 v23, v20, s1, v21
	v_mul_f16_e32 v27, 0xbaee, v26
	v_mul_f16_e32 v26, 0.5, v26
	v_fma_f16 v11, v17, -0.5, v11
	v_fma_f16 v7, v9, s1, v7
	v_sub_f16_e32 v18, v33, v35
	v_fma_f16 v27, v23, 0.5, v27
	v_fma_f16 v23, v23, s0, v26
	v_add_f16_e32 v26, v16, v22
	v_add_f16_e32 v32, v10, v19
	v_fma_f16 v17, v15, s1, v11
	v_fma_f16 v11, v15, s0, v11
	;; [unrolled: 1-line block ×3, first 2 shown]
	v_mul_f16_e32 v9, 0xbaee, v7
	v_mul_f16_e32 v7, -0.5, v7
	v_pack_b32_f16 v26, v26, v32
	v_fma_f16 v32, v18, s0, v8
	v_fma_f16 v8, v18, s1, v8
	v_fma_f16 v9, v15, -0.5, v9
	v_fma_f16 v7, v15, s0, v7
	v_sub_f16_e32 v15, v16, v22
	v_sub_f16_e32 v10, v10, v19
	v_add_f16_e32 v16, v11, v9
	v_add_f16_e32 v18, v8, v7
	v_pack_b32_f16 v16, v16, v18
	v_pack_b32_f16 v10, v15, v10
	ds_write2_b32 v130, v16, v10 offset0:120 offset1:180
	v_sub_f16_e32 v10, v17, v27
	v_sub_f16_e32 v9, v11, v9
	;; [unrolled: 1-line block ×4, first 2 shown]
	v_pack_b32_f16 v8, v10, v11
	v_pack_b32_f16 v7, v9, v7
	ds_write2_b32 v131, v8, v7 offset0:112 offset1:172
	v_lshrrev_b32_e32 v7, 16, v13
	v_mul_f16_sdwa v8, v48, v13 dst_sel:DWORD dst_unused:UNUSED_PAD src0_sel:WORD_1 src1_sel:DWORD
	v_fma_f16 v8, v48, v7, -v8
	v_mul_f16_sdwa v7, v48, v7 dst_sel:DWORD dst_unused:UNUSED_PAD src0_sel:WORD_1 src1_sel:DWORD
	v_add_f16_e32 v16, v108, v109
	v_add_f16_e32 v33, v17, v27
	v_fma_f16 v7, v48, v13, v7
	v_add_f16_e32 v16, v16, v8
	v_sub_f16_e32 v17, v109, v8
	v_add_f16_e32 v8, v109, v8
	v_add_f16_e32 v19, v28, v30
	;; [unrolled: 1-line block ×3, first 2 shown]
	v_lshrrev_b32_e32 v10, 16, v12
	v_fma_f16 v8, v8, -0.5, v108
	v_add_f16_e32 v18, v30, v7
	v_add_f16_e32 v19, v19, v7
	v_sub_f16_e32 v7, v30, v7
	v_fma_f16 v9, v9, -0.5, v12
	v_add_f16_e32 v11, v12, v44
	v_add_f16_e32 v12, v10, v29
	v_fma_f16 v18, v18, -0.5, v28
	v_fma_f16 v21, v7, s0, v8
	v_add_f16_e32 v12, v12, v31
	v_add_f16_e32 v11, v11, v107
	v_fma_f16 v20, v17, s1, v18
	v_mul_f16_e32 v22, 0xbaee, v21
	v_mul_f16_e32 v21, 0.5, v21
	v_add_f16_e32 v34, v32, v23
	v_sub_f16_e32 v13, v29, v31
	v_add_f16_e32 v15, v29, v31
	v_fma_f16 v22, v20, 0.5, v22
	v_fma_f16 v20, v20, s0, v21
	v_add_f16_e32 v21, v11, v19
	v_add_f16_e32 v23, v12, v16
	v_fma_f16 v7, v7, s1, v8
	v_pack_b32_f16 v33, v33, v34
	v_fma_f16 v10, v15, -0.5, v10
	v_sub_f16_e32 v15, v44, v107
	v_pack_b32_f16 v21, v21, v23
	v_fma_f16 v23, v13, s1, v9
	v_fma_f16 v9, v13, s0, v9
	;; [unrolled: 1-line block ×3, first 2 shown]
	v_mul_f16_e32 v8, 0xbaee, v7
	v_mul_f16_e32 v7, -0.5, v7
	ds_write2_b32 v130, v26, v33 offset1:60
	v_fma_f16 v26, v15, s0, v10
	v_fma_f16 v10, v15, s1, v10
	v_fma_f16 v8, v13, -0.5, v8
	v_fma_f16 v7, v13, s0, v7
	v_sub_f16_e32 v11, v11, v19
	v_sub_f16_e32 v12, v12, v16
	v_add_f16_e32 v13, v9, v8
	v_add_f16_e32 v15, v10, v7
	v_pack_b32_f16 v13, v13, v15
	v_pack_b32_f16 v11, v11, v12
	ds_write2_b32 v132, v13, v11 offset0:120 offset1:180
	v_sub_f16_e32 v11, v23, v22
	v_sub_f16_e32 v8, v9, v8
	v_sub_f16_e32 v9, v26, v20
	v_sub_f16_e32 v7, v10, v7
	v_pack_b32_f16 v9, v11, v9
	v_pack_b32_f16 v7, v8, v7
	ds_write2_b32 v133, v9, v7 offset0:112 offset1:172
	v_lshrrev_b32_e32 v7, 16, v14
	v_mul_f16_sdwa v9, v46, v14 dst_sel:DWORD dst_unused:UNUSED_PAD src0_sel:WORD_1 src1_sel:DWORD
	v_lshrrev_b32_e32 v10, 16, v0
	v_mul_f16_sdwa v8, v46, v7 dst_sel:DWORD dst_unused:UNUSED_PAD src0_sel:WORD_1 src1_sel:DWORD
	v_fma_f16 v7, v46, v7, -v9
	v_add_f16_e32 v11, v10, v5
	v_sub_f16_e32 v12, v5, v24
	v_add_f16_e32 v5, v5, v24
	v_fma_f16 v8, v46, v14, v8
	v_fma_f16 v5, v5, -0.5, v10
	v_add_f16_e32 v10, v2, v6
	v_sub_f16_e32 v13, v6, v7
	v_add_f16_e32 v6, v6, v7
	v_fma_f16 v2, v6, -0.5, v2
	v_add_f16_e32 v6, v4, v8
	v_add_f16_e32 v9, v3, v25
	v_fma_f16 v6, v6, -0.5, v1
	v_add_f16_e32 v1, v1, v4
	v_sub_f16_e32 v4, v4, v8
	v_fma_f16 v9, v9, -0.5, v0
	v_add_f16_e32 v0, v0, v3
	v_add_f16_e32 v1, v1, v8
	v_fma_f16 v8, v4, s0, v2
	v_add_f16_e32 v11, v11, v24
	v_add_f16_e32 v0, v0, v25
	;; [unrolled: 1-line block ×3, first 2 shown]
	v_fma_f16 v7, v13, s1, v6
	v_mul_f16_e32 v14, 0xbaee, v8
	v_mul_f16_e32 v8, 0.5, v8
	v_sub_f16_e32 v3, v3, v25
	v_fma_f16 v14, v7, 0.5, v14
	v_fma_f16 v7, v7, s0, v8
	v_add_f16_e32 v8, v0, v1
	v_add_f16_e32 v15, v11, v10
	v_pack_b32_f16 v8, v8, v15
	v_fma_f16 v15, v12, s1, v9
	v_fma_f16 v16, v3, s0, v5
	v_add_f16_e32 v27, v23, v22
	v_add_f16_e32 v28, v26, v20
	;; [unrolled: 1-line block ×4, first 2 shown]
	v_fma_f16 v2, v4, s1, v2
	v_pack_b32_f16 v27, v27, v28
	v_pack_b32_f16 v17, v17, v18
	v_fma_f16 v3, v3, s1, v5
	v_fma_f16 v5, v13, s0, v6
	v_mul_f16_e32 v4, 0xbaee, v2
	v_mul_f16_e32 v2, -0.5, v2
	ds_write2_b32 v132, v21, v27 offset1:60
	ds_write2_b32 v45, v8, v17 offset1:60
	v_fma_f16 v8, v12, s0, v9
	v_fma_f16 v4, v5, -0.5, v4
	v_fma_f16 v2, v5, s0, v2
	v_sub_f16_e32 v0, v0, v1
	v_sub_f16_e32 v1, v11, v10
	v_add_f16_e32 v5, v8, v4
	v_add_f16_e32 v6, v3, v2
	v_pack_b32_f16 v5, v5, v6
	v_pack_b32_f16 v0, v0, v1
	ds_write2_b32 v45, v5, v0 offset0:120 offset1:180
	v_sub_f16_e32 v0, v15, v14
	v_sub_f16_e32 v1, v8, v4
	;; [unrolled: 1-line block ×4, first 2 shown]
	v_pack_b32_f16 v0, v0, v4
	v_pack_b32_f16 v1, v1, v2
	ds_write2_b32 v134, v0, v1 offset0:112 offset1:172
	s_waitcnt lgkmcnt(0)
	s_barrier
	ds_read2_b32 v[0:1], v77 offset1:96
	s_waitcnt lgkmcnt(0)
	v_lshrrev_b32_e32 v2, 16, v0
	v_mul_f16_sdwa v3, v166, v0 dst_sel:DWORD dst_unused:UNUSED_PAD src0_sel:WORD_1 src1_sel:DWORD
	v_fma_f16 v25, v166, v2, -v3
	v_mul_f16_sdwa v2, v166, v2 dst_sel:DWORD dst_unused:UNUSED_PAD src0_sel:WORD_1 src1_sel:DWORD
	v_fma_f16 v4, v166, v0, v2
	v_lshrrev_b32_e32 v0, 16, v1
	ds_read2_b32 v[2:3], v100 offset0:64 offset1:160
	v_mul_f16_sdwa v5, v164, v0 dst_sel:DWORD dst_unused:UNUSED_PAD src0_sel:WORD_1 src1_sel:DWORD
	v_fma_f16 v26, v164, v1, v5
	v_mul_f16_sdwa v1, v164, v1 dst_sel:DWORD dst_unused:UNUSED_PAD src0_sel:WORD_1 src1_sel:DWORD
	v_fma_f16 v27, v164, v0, -v1
	ds_read2_b32 v[0:1], v97 offset1:96
	s_waitcnt lgkmcnt(1)
	v_lshrrev_b32_e32 v5, 16, v3
	v_mul_f16_sdwa v6, v149, v3 dst_sel:DWORD dst_unused:UNUSED_PAD src0_sel:WORD_1 src1_sel:DWORD
	v_fma_f16 v6, v149, v5, -v6
	v_mul_f16_sdwa v5, v149, v5 dst_sel:DWORD dst_unused:UNUSED_PAD src0_sel:WORD_1 src1_sel:DWORD
	v_fma_f16 v3, v149, v3, v5
	s_waitcnt lgkmcnt(0)
	v_sub_f16_e32 v28, v1, v4
	v_lshrrev_b32_e32 v4, 16, v0
	v_sub_f16_e32 v3, v0, v3
	v_lshrrev_b32_e32 v29, 16, v1
	v_fma_f16 v30, v1, 2.0, -v28
	v_sub_f16_e32 v1, v4, v6
	v_fma_f16 v0, v0, 2.0, -v3
	v_fma_f16 v4, v4, 2.0, -v1
	v_sub_f16_e32 v25, v29, v25
	v_pack_b32_f16 v31, v0, v4
	v_pack_b32_f16 v32, v3, v1
	ds_read2_b32 v[0:1], v104 offset0:64 offset1:160
	ds_read2_b32 v[3:4], v99 offset0:64 offset1:160
	;; [unrolled: 1-line block ×6, first 2 shown]
	ds_read2_b32 v[13:14], v102 offset1:96
	ds_read2_b32 v[15:16], v94 offset1:96
	ds_read2_b32 v[17:18], v80 offset0:64 offset1:160
	ds_read2_b32 v[19:20], v95 offset0:64 offset1:160
	;; [unrolled: 1-line block ×4, first 2 shown]
	v_fma_f16 v29, v29, 2.0, -v25
	v_pack_b32_f16 v25, v28, v25
	s_waitcnt lgkmcnt(11)
	v_lshrrev_b32_e32 v28, 16, v0
	v_sub_f16_e32 v26, v0, v26
	v_sub_f16_e32 v27, v28, v27
	v_fma_f16 v28, v28, 2.0, -v27
	v_fma_f16 v0, v0, 2.0, -v26
	v_pack_b32_f16 v29, v30, v29
	v_pack_b32_f16 v0, v0, v28
	s_waitcnt lgkmcnt(0)
	s_barrier
	ds_write_b32 v97, v32 offset:1440
	ds_write2_b32 v97, v31, v29 offset1:96
	ds_write_b32 v97, v0 offset:768
	v_pack_b32_f16 v0, v26, v27
	ds_write2_b32 v162, v25, v0 offset0:72 offset1:168
	v_lshrrev_b32_e32 v0, 16, v3
	v_mul_f16_sdwa v25, v146, v3 dst_sel:DWORD dst_unused:UNUSED_PAD src0_sel:WORD_1 src1_sel:DWORD
	v_fma_f16 v25, v146, v0, -v25
	v_mul_f16_sdwa v0, v146, v0 dst_sel:DWORD dst_unused:UNUSED_PAD src0_sel:WORD_1 src1_sel:DWORD
	v_fma_f16 v0, v146, v3, v0
	v_lshrrev_b32_e32 v3, 16, v4
	v_mul_f16_sdwa v26, v144, v3 dst_sel:DWORD dst_unused:UNUSED_PAD src0_sel:WORD_1 src1_sel:DWORD
	v_fma_f16 v26, v144, v4, v26
	v_mul_f16_sdwa v4, v144, v4 dst_sel:DWORD dst_unused:UNUSED_PAD src0_sel:WORD_1 src1_sel:DWORD
	v_fma_f16 v3, v144, v3, -v4
	v_lshrrev_b32_e32 v4, 16, v1
	v_sub_f16_e32 v0, v1, v0
	v_sub_f16_e32 v25, v4, v25
	v_fma_f16 v1, v1, 2.0, -v0
	v_fma_f16 v4, v4, 2.0, -v25
	v_pack_b32_f16 v1, v1, v4
	v_pack_b32_f16 v0, v0, v25
	ds_write_b32 v158, v1
	ds_write_b32 v158, v0 offset:1440
	v_lshrrev_b32_e32 v0, 16, v7
	v_mul_f16_sdwa v1, v142, v7 dst_sel:DWORD dst_unused:UNUSED_PAD src0_sel:WORD_1 src1_sel:DWORD
	v_fma_f16 v1, v142, v0, -v1
	v_mul_f16_sdwa v0, v142, v0 dst_sel:DWORD dst_unused:UNUSED_PAD src0_sel:WORD_1 src1_sel:DWORD
	v_fma_f16 v0, v142, v7, v0
	v_lshrrev_b32_e32 v7, 16, v5
	v_sub_f16_e32 v4, v5, v26
	v_lshrrev_b32_e32 v25, 16, v6
	v_sub_f16_e32 v3, v7, v3
	v_sub_f16_e32 v0, v6, v0
	v_fma_f16 v5, v5, 2.0, -v4
	v_fma_f16 v7, v7, 2.0, -v3
	v_sub_f16_e32 v1, v25, v1
	v_fma_f16 v6, v6, 2.0, -v0
	v_pack_b32_f16 v5, v5, v7
	v_fma_f16 v7, v25, 2.0, -v1
	v_pack_b32_f16 v6, v6, v7
	ds_write2_b32 v106, v5, v6 offset0:104 offset1:200
	v_lshrrev_b32_e32 v5, 16, v8
	v_mul_f16_sdwa v6, v143, v5 dst_sel:DWORD dst_unused:UNUSED_PAD src0_sel:WORD_1 src1_sel:DWORD
	v_fma_f16 v6, v143, v8, v6
	v_mul_f16_sdwa v7, v143, v8 dst_sel:DWORD dst_unused:UNUSED_PAD src0_sel:WORD_1 src1_sel:DWORD
	v_fma_f16 v5, v143, v5, -v7
	v_pack_b32_f16 v3, v4, v3
	v_sub_f16_e32 v4, v9, v6
	v_lshrrev_b32_e32 v6, 16, v9
	v_lshrrev_b32_e32 v7, 16, v11
	v_mul_f16_sdwa v8, v141, v11 dst_sel:DWORD dst_unused:UNUSED_PAD src0_sel:WORD_1 src1_sel:DWORD
	v_sub_f16_e32 v5, v6, v5
	v_fma_f16 v8, v141, v7, -v8
	v_mul_f16_sdwa v7, v141, v7 dst_sel:DWORD dst_unused:UNUSED_PAD src0_sel:WORD_1 src1_sel:DWORD
	v_pack_b32_f16 v0, v0, v1
	v_pack_b32_f16 v1, v4, v5
	v_fma_f16 v7, v141, v11, v7
	v_fma_f16 v6, v6, 2.0, -v5
	v_fma_f16 v9, v9, 2.0, -v4
	ds_write2_b32 v105, v0, v1 offset0:48 offset1:144
	v_lshrrev_b32_e32 v1, 16, v10
	v_lshrrev_b32_e32 v11, 16, v12
	v_pack_b32_f16 v6, v9, v6
	v_sub_f16_e32 v0, v10, v7
	v_sub_f16_e32 v4, v1, v8
	v_mul_f16_sdwa v25, v153, v11 dst_sel:DWORD dst_unused:UNUSED_PAD src0_sel:WORD_1 src1_sel:DWORD
	ds_write2_b32 v80, v6, v3 offset0:40 offset1:208
	v_fma_f16 v3, v10, 2.0, -v0
	v_fma_f16 v1, v1, 2.0, -v4
	v_fma_f16 v25, v153, v12, v25
	v_mul_f16_sdwa v12, v153, v12 dst_sel:DWORD dst_unused:UNUSED_PAD src0_sel:WORD_1 src1_sel:DWORD
	v_pack_b32_f16 v1, v3, v1
	v_fma_f16 v11, v153, v11, -v12
	ds_write_b32 v178, v1
	v_pack_b32_f16 v0, v0, v4
	v_lshrrev_b32_e32 v1, 16, v13
	ds_write_b32 v178, v0 offset:1440
	v_sub_f16_e32 v0, v13, v25
	v_sub_f16_e32 v3, v1, v11
	v_lshrrev_b32_e32 v12, 16, v15
	v_mul_f16_sdwa v26, v151, v15 dst_sel:DWORD dst_unused:UNUSED_PAD src0_sel:WORD_1 src1_sel:DWORD
	v_fma_f16 v1, v1, 2.0, -v3
	v_fma_f16 v4, v13, 2.0, -v0
	v_fma_f16 v26, v151, v12, -v26
	v_mul_f16_sdwa v12, v151, v12 dst_sel:DWORD dst_unused:UNUSED_PAD src0_sel:WORD_1 src1_sel:DWORD
	v_pack_b32_f16 v1, v4, v1
	v_fma_f16 v12, v151, v15, v12
	ds_write_b32 v140, v1 offset:5760
	v_pack_b32_f16 v0, v0, v3
	v_lshrrev_b32_e32 v1, 16, v14
	v_lshrrev_b32_e32 v15, 16, v16
	ds_write_b32 v140, v0 offset:7200
	v_sub_f16_e32 v0, v14, v12
	v_sub_f16_e32 v4, v1, v26
	v_mul_f16_sdwa v27, v152, v15 dst_sel:DWORD dst_unused:UNUSED_PAD src0_sel:WORD_1 src1_sel:DWORD
	v_fma_f16 v3, v14, 2.0, -v0
	v_fma_f16 v1, v1, 2.0, -v4
	v_fma_f16 v27, v152, v16, v27
	v_mul_f16_sdwa v16, v152, v16 dst_sel:DWORD dst_unused:UNUSED_PAD src0_sel:WORD_1 src1_sel:DWORD
	v_pack_b32_f16 v1, v3, v1
	v_fma_f16 v15, v152, v15, -v16
	ds_write_b32 v139, v1 offset:5760
	v_pack_b32_f16 v0, v0, v4
	v_lshrrev_b32_e32 v1, 16, v17
	ds_write_b32 v139, v0 offset:7200
	v_sub_f16_e32 v0, v17, v27
	v_sub_f16_e32 v3, v1, v15
	v_lshrrev_b32_e32 v16, 16, v19
	v_mul_f16_sdwa v28, v150, v19 dst_sel:DWORD dst_unused:UNUSED_PAD src0_sel:WORD_1 src1_sel:DWORD
	v_fma_f16 v1, v1, 2.0, -v3
	v_fma_f16 v4, v17, 2.0, -v0
	v_fma_f16 v28, v150, v16, -v28
	v_mul_f16_sdwa v16, v150, v16 dst_sel:DWORD dst_unused:UNUSED_PAD src0_sel:WORD_1 src1_sel:DWORD
	v_pack_b32_f16 v1, v4, v1
	v_fma_f16 v16, v150, v19, v16
	ds_write_b32 v138, v1 offset:5760
	v_pack_b32_f16 v0, v0, v3
	v_lshrrev_b32_e32 v1, 16, v18
	v_lshrrev_b32_e32 v19, 16, v20
	ds_write_b32 v138, v0 offset:7200
	v_sub_f16_e32 v0, v18, v16
	v_sub_f16_e32 v4, v1, v28
	v_mul_f16_sdwa v29, v148, v19 dst_sel:DWORD dst_unused:UNUSED_PAD src0_sel:WORD_1 src1_sel:DWORD
	v_fma_f16 v3, v18, 2.0, -v0
	v_fma_f16 v1, v1, 2.0, -v4
	v_fma_f16 v29, v148, v20, v29
	v_mul_f16_sdwa v20, v148, v20 dst_sel:DWORD dst_unused:UNUSED_PAD src0_sel:WORD_1 src1_sel:DWORD
	v_pack_b32_f16 v1, v3, v1
	v_fma_f16 v19, v148, v19, -v20
	ds_write_b32 v175, v1
	v_pack_b32_f16 v0, v0, v4
	v_lshrrev_b32_e32 v1, 16, v21
	ds_write_b32 v175, v0 offset:1440
	v_sub_f16_e32 v0, v21, v29
	v_sub_f16_e32 v3, v1, v19
	v_lshrrev_b32_e32 v20, 16, v23
	v_mul_f16_sdwa v30, v147, v23 dst_sel:DWORD dst_unused:UNUSED_PAD src0_sel:WORD_1 src1_sel:DWORD
	v_fma_f16 v1, v1, 2.0, -v3
	v_fma_f16 v4, v21, 2.0, -v0
	v_fma_f16 v30, v147, v20, -v30
	v_mul_f16_sdwa v20, v147, v20 dst_sel:DWORD dst_unused:UNUSED_PAD src0_sel:WORD_1 src1_sel:DWORD
	v_pack_b32_f16 v1, v4, v1
	v_fma_f16 v20, v147, v23, v20
	ds_write_b32 v137, v1 offset:8640
	v_pack_b32_f16 v0, v0, v3
	v_lshrrev_b32_e32 v1, 16, v22
	v_lshrrev_b32_e32 v23, 16, v24
	ds_write_b32 v137, v0 offset:10080
	v_sub_f16_e32 v0, v22, v20
	v_sub_f16_e32 v4, v1, v30
	v_mul_f16_sdwa v31, v145, v23 dst_sel:DWORD dst_unused:UNUSED_PAD src0_sel:WORD_1 src1_sel:DWORD
	v_fma_f16 v3, v22, 2.0, -v0
	v_fma_f16 v1, v1, 2.0, -v4
	v_fma_f16 v31, v145, v24, v31
	v_mul_f16_sdwa v24, v145, v24 dst_sel:DWORD dst_unused:UNUSED_PAD src0_sel:WORD_1 src1_sel:DWORD
	v_pack_b32_f16 v1, v3, v1
	v_fma_f16 v23, v145, v23, -v24
	ds_write_b32 v136, v1 offset:8640
	v_pack_b32_f16 v0, v0, v4
	v_lshrrev_b32_e32 v1, 16, v2
	ds_write_b32 v136, v0 offset:10080
	v_sub_f16_e32 v0, v2, v31
	v_sub_f16_e32 v3, v1, v23
	v_fma_f16 v2, v2, 2.0, -v0
	v_fma_f16 v1, v1, 2.0, -v3
	v_pack_b32_f16 v1, v2, v1
	v_pack_b32_f16 v0, v0, v3
	ds_write_b32 v135, v1 offset:8640
	ds_write_b32 v135, v0 offset:10080
	s_waitcnt lgkmcnt(0)
	s_barrier
	ds_read2_b32 v[0:1], v77 offset1:96
	s_waitcnt lgkmcnt(0)
	v_lshrrev_b32_e32 v2, 16, v0
	v_mul_f16_sdwa v3, v184, v0 dst_sel:DWORD dst_unused:UNUSED_PAD src0_sel:WORD_1 src1_sel:DWORD
	v_fma_f16 v21, v184, v2, -v3
	v_mul_f16_sdwa v2, v184, v2 dst_sel:DWORD dst_unused:UNUSED_PAD src0_sel:WORD_1 src1_sel:DWORD
	v_fma_f16 v4, v184, v0, v2
	ds_read2_b32 v[2:3], v99 offset0:64 offset1:160
	v_lshrrev_b32_e32 v0, 16, v1
	v_mul_f16_sdwa v5, v183, v0 dst_sel:DWORD dst_unused:UNUSED_PAD src0_sel:WORD_1 src1_sel:DWORD
	v_fma_f16 v22, v183, v1, v5
	v_mul_f16_sdwa v1, v183, v1 dst_sel:DWORD dst_unused:UNUSED_PAD src0_sel:WORD_1 src1_sel:DWORD
	v_fma_f16 v23, v183, v0, -v1
	s_waitcnt lgkmcnt(0)
	v_lshrrev_b32_e32 v0, 16, v2
	v_mul_f16_sdwa v1, v179, v2 dst_sel:DWORD dst_unused:UNUSED_PAD src0_sel:WORD_1 src1_sel:DWORD
	v_fma_f16 v24, v179, v0, -v1
	v_mul_f16_sdwa v0, v179, v0 dst_sel:DWORD dst_unused:UNUSED_PAD src0_sel:WORD_1 src1_sel:DWORD
	v_fma_f16 v25, v179, v2, v0
	ds_read2_b32 v[0:1], v98 offset0:128 offset1:224
	v_lshrrev_b32_e32 v2, 16, v3
	v_mul_f16_sdwa v5, v181, v2 dst_sel:DWORD dst_unused:UNUSED_PAD src0_sel:WORD_1 src1_sel:DWORD
	v_fma_f16 v26, v181, v3, v5
	v_mul_f16_sdwa v3, v181, v3 dst_sel:DWORD dst_unused:UNUSED_PAD src0_sel:WORD_1 src1_sel:DWORD
	v_fma_f16 v27, v181, v2, -v3
	s_waitcnt lgkmcnt(0)
	v_lshrrev_b32_e32 v2, 16, v0
	v_mul_f16_sdwa v3, v180, v0 dst_sel:DWORD dst_unused:UNUSED_PAD src0_sel:WORD_1 src1_sel:DWORD
	v_fma_f16 v28, v180, v2, -v3
	v_mul_f16_sdwa v2, v180, v2 dst_sel:DWORD dst_unused:UNUSED_PAD src0_sel:WORD_1 src1_sel:DWORD
	v_fma_f16 v29, v180, v0, v2
	v_lshrrev_b32_e32 v0, 16, v1
	ds_read2_b32 v[2:3], v100 offset0:64 offset1:160
	v_mul_f16_sdwa v5, v182, v0 dst_sel:DWORD dst_unused:UNUSED_PAD src0_sel:WORD_1 src1_sel:DWORD
	v_fma_f16 v30, v182, v1, v5
	v_mul_f16_sdwa v1, v182, v1 dst_sel:DWORD dst_unused:UNUSED_PAD src0_sel:WORD_1 src1_sel:DWORD
	v_fma_f16 v31, v182, v0, -v1
	ds_read2_b32 v[0:1], v97 offset1:96
	s_waitcnt lgkmcnt(1)
	v_lshrrev_b32_e32 v5, 16, v3
	v_mul_f16_sdwa v6, v165, v3 dst_sel:DWORD dst_unused:UNUSED_PAD src0_sel:WORD_1 src1_sel:DWORD
	v_fma_f16 v6, v165, v5, -v6
	v_mul_f16_sdwa v5, v165, v5 dst_sel:DWORD dst_unused:UNUSED_PAD src0_sel:WORD_1 src1_sel:DWORD
	v_fma_f16 v3, v165, v3, v5
	s_waitcnt lgkmcnt(0)
	v_sub_f16_e32 v32, v1, v4
	v_lshrrev_b32_e32 v4, 16, v0
	v_sub_f16_e32 v3, v0, v3
	v_lshrrev_b32_e32 v33, 16, v1
	v_fma_f16 v34, v1, 2.0, -v32
	v_sub_f16_e32 v1, v4, v6
	v_fma_f16 v0, v0, 2.0, -v3
	v_fma_f16 v4, v4, 2.0, -v1
	v_sub_f16_e32 v21, v33, v21
	v_pack_b32_f16 v35, v0, v4
	v_pack_b32_f16 v36, v3, v1
	ds_read2_b32 v[0:1], v104 offset0:64 offset1:160
	ds_read2_b32 v[3:4], v86 offset0:128 offset1:224
	;; [unrolled: 1-line block ×4, first 2 shown]
	ds_read2_b32 v[9:10], v102 offset1:96
	ds_read2_b32 v[11:12], v94 offset1:96
	ds_read2_b32 v[13:14], v80 offset0:64 offset1:160
	ds_read2_b32 v[15:16], v95 offset0:64 offset1:160
	;; [unrolled: 1-line block ×4, first 2 shown]
	v_fma_f16 v33, v33, 2.0, -v21
	v_pack_b32_f16 v21, v32, v21
	s_waitcnt lgkmcnt(9)
	v_lshrrev_b32_e32 v32, 16, v0
	v_pack_b32_f16 v33, v34, v33
	v_sub_f16_e32 v22, v0, v22
	v_sub_f16_e32 v23, v32, v23
	s_waitcnt lgkmcnt(0)
	s_barrier
	ds_write_b32 v97, v36 offset:2880
	ds_write2_b32 v97, v35, v33 offset1:96
	v_pack_b32_f16 v33, v22, v23
	ds_write2_b32 v102, v21, v33 offset0:48 offset1:144
	v_fma_f16 v21, v32, 2.0, -v23
	v_fma_f16 v0, v0, 2.0, -v22
	v_lshrrev_b32_e32 v23, 16, v1
	v_sub_f16_e32 v22, v1, v25
	v_pack_b32_f16 v0, v0, v21
	v_sub_f16_e32 v21, v23, v24
	v_fma_f16 v1, v1, 2.0, -v22
	v_fma_f16 v23, v23, 2.0, -v21
	v_pack_b32_f16 v1, v1, v23
	ds_write2_b32 v104, v0, v1 offset0:64 offset1:160
	v_pack_b32_f16 v0, v22, v21
	v_lshrrev_b32_e32 v21, 16, v3
	v_sub_f16_e32 v1, v3, v26
	v_sub_f16_e32 v22, v21, v27
	v_pack_b32_f16 v23, v1, v22
	ds_write2_b32 v80, v0, v23 offset0:112 offset1:208
	v_fma_f16 v0, v21, 2.0, -v22
	v_fma_f16 v1, v3, 2.0, -v1
	v_lshrrev_b32_e32 v21, 16, v4
	v_sub_f16_e32 v3, v4, v29
	v_pack_b32_f16 v0, v1, v0
	v_sub_f16_e32 v1, v21, v28
	v_fma_f16 v4, v4, 2.0, -v3
	v_fma_f16 v21, v21, 2.0, -v1
	v_pack_b32_f16 v4, v4, v21
	ds_write2_b32 v86, v0, v4 offset0:128 offset1:224
	v_pack_b32_f16 v0, v3, v1
	v_lshrrev_b32_e32 v3, 16, v5
	v_sub_f16_e32 v1, v5, v30
	v_sub_f16_e32 v4, v3, v31
	v_fma_f16 v3, v3, 2.0, -v4
	v_fma_f16 v5, v5, 2.0, -v1
	v_pack_b32_f16 v3, v5, v3
	v_pack_b32_f16 v1, v1, v4
	ds_write_b32 v97, v3 offset:2304
	ds_write2_b32 v105, v0, v1 offset0:48 offset1:144
	v_lshrrev_b32_e32 v0, 16, v7
	v_mul_f16_sdwa v1, v167, v7 dst_sel:DWORD dst_unused:UNUSED_PAD src0_sel:WORD_1 src1_sel:DWORD
	v_fma_f16 v1, v167, v0, -v1
	v_mul_f16_sdwa v0, v167, v0 dst_sel:DWORD dst_unused:UNUSED_PAD src0_sel:WORD_1 src1_sel:DWORD
	v_lshrrev_b32_e32 v3, 16, v8
	v_mul_f16_sdwa v5, v160, v8 dst_sel:DWORD dst_unused:UNUSED_PAD src0_sel:WORD_1 src1_sel:DWORD
	v_fma_f16 v0, v167, v7, v0
	v_mul_f16_sdwa v4, v160, v3 dst_sel:DWORD dst_unused:UNUSED_PAD src0_sel:WORD_1 src1_sel:DWORD
	v_fma_f16 v3, v160, v3, -v5
	v_lshrrev_b32_e32 v5, 16, v6
	v_sub_f16_e32 v0, v6, v0
	v_sub_f16_e32 v1, v5, v1
	v_fma_f16 v6, v6, 2.0, -v0
	v_pack_b32_f16 v0, v0, v1
	v_fma_f16 v5, v5, 2.0, -v1
	ds_write_b32 v168, v0 offset:2880
	v_lshrrev_b32_e32 v0, 16, v11
	v_mul_f16_sdwa v1, v156, v11 dst_sel:DWORD dst_unused:UNUSED_PAD src0_sel:WORD_1 src1_sel:DWORD
	v_pack_b32_f16 v5, v6, v5
	v_fma_f16 v1, v156, v0, -v1
	v_mul_f16_sdwa v0, v156, v0 dst_sel:DWORD dst_unused:UNUSED_PAD src0_sel:WORD_1 src1_sel:DWORD
	v_fma_f16 v4, v160, v8, v4
	ds_write_b32 v168, v5
	v_fma_f16 v0, v156, v11, v0
	v_lshrrev_b32_e32 v5, 16, v9
	v_lshrrev_b32_e32 v6, 16, v10
	v_sub_f16_e32 v4, v9, v4
	v_sub_f16_e32 v0, v10, v0
	;; [unrolled: 1-line block ×4, first 2 shown]
	v_fma_f16 v7, v9, 2.0, -v4
	v_fma_f16 v8, v10, 2.0, -v0
	;; [unrolled: 1-line block ×4, first 2 shown]
	v_pack_b32_f16 v5, v7, v5
	v_pack_b32_f16 v6, v8, v6
	ds_write2_b32 v170, v5, v6 offset0:80 offset1:176
	v_lshrrev_b32_e32 v5, 16, v12
	v_mul_f16_sdwa v6, v154, v5 dst_sel:DWORD dst_unused:UNUSED_PAD src0_sel:WORD_1 src1_sel:DWORD
	v_mul_f16_sdwa v7, v154, v12 dst_sel:DWORD dst_unused:UNUSED_PAD src0_sel:WORD_1 src1_sel:DWORD
	v_lshrrev_b32_e32 v9, 16, v16
	v_mul_f16_sdwa v11, v161, v16 dst_sel:DWORD dst_unused:UNUSED_PAD src0_sel:WORD_1 src1_sel:DWORD
	v_fma_f16 v6, v154, v12, v6
	v_fma_f16 v5, v154, v5, -v7
	v_lshrrev_b32_e32 v7, 16, v15
	v_mul_f16_sdwa v8, v155, v15 dst_sel:DWORD dst_unused:UNUSED_PAD src0_sel:WORD_1 src1_sel:DWORD
	v_mul_f16_sdwa v10, v161, v9 dst_sel:DWORD dst_unused:UNUSED_PAD src0_sel:WORD_1 src1_sel:DWORD
	v_fma_f16 v9, v161, v9, -v11
	v_lshrrev_b32_e32 v11, 16, v19
	v_mul_f16_sdwa v12, v159, v19 dst_sel:DWORD dst_unused:UNUSED_PAD src0_sel:WORD_1 src1_sel:DWORD
	v_fma_f16 v8, v155, v7, -v8
	v_mul_f16_sdwa v7, v155, v7 dst_sel:DWORD dst_unused:UNUSED_PAD src0_sel:WORD_1 src1_sel:DWORD
	v_fma_f16 v12, v159, v11, -v12
	v_mul_f16_sdwa v11, v159, v11 dst_sel:DWORD dst_unused:UNUSED_PAD src0_sel:WORD_1 src1_sel:DWORD
	v_pack_b32_f16 v0, v0, v1
	v_sub_f16_e32 v1, v13, v6
	v_lshrrev_b32_e32 v6, 16, v13
	v_fma_f16 v7, v155, v15, v7
	v_fma_f16 v11, v159, v19, v11
	v_lshrrev_b32_e32 v15, 16, v20
	v_mul_f16_sdwa v19, v157, v20 dst_sel:DWORD dst_unused:UNUSED_PAD src0_sel:WORD_1 src1_sel:DWORD
	v_sub_f16_e32 v5, v6, v5
	v_fma_f16 v10, v161, v16, v10
	v_mul_f16_sdwa v16, v157, v15 dst_sel:DWORD dst_unused:UNUSED_PAD src0_sel:WORD_1 src1_sel:DWORD
	v_fma_f16 v15, v157, v15, -v19
	v_pack_b32_f16 v19, v1, v5
	ds_write2_b32 v94, v0, v19 offset1:96
	v_fma_f16 v0, v6, 2.0, -v5
	v_fma_f16 v1, v13, 2.0, -v1
	v_lshrrev_b32_e32 v6, 16, v14
	v_sub_f16_e32 v5, v14, v7
	v_pack_b32_f16 v0, v1, v0
	v_sub_f16_e32 v1, v6, v8
	v_fma_f16 v7, v14, 2.0, -v5
	v_fma_f16 v6, v6, 2.0, -v1
	v_pack_b32_f16 v6, v7, v6
	ds_write2_b32 v77, v0, v6 offset0:144 offset1:240
	v_pack_b32_f16 v0, v5, v1
	v_lshrrev_b32_e32 v5, 16, v17
	v_sub_f16_e32 v1, v17, v10
	v_sub_f16_e32 v6, v5, v9
	v_pack_b32_f16 v7, v1, v6
	ds_write2_b32 v95, v0, v7 offset0:64 offset1:160
	v_fma_f16 v0, v5, 2.0, -v6
	v_fma_f16 v1, v17, 2.0, -v1
	v_lshrrev_b32_e32 v6, 16, v18
	v_sub_f16_e32 v5, v18, v11
	v_pack_b32_f16 v0, v1, v0
	v_sub_f16_e32 v1, v6, v12
	v_fma_f16 v7, v18, 2.0, -v5
	v_fma_f16 v6, v6, 2.0, -v1
	v_pack_b32_f16 v6, v7, v6
	v_fma_f16 v16, v157, v20, v16
	ds_write2_b32 v98, v0, v6 offset0:80 offset1:176
	v_lshrrev_b32_e32 v6, 16, v2
	v_sub_f16_e32 v0, v2, v16
	v_sub_f16_e32 v7, v6, v15
	v_fma_f16 v2, v2, 2.0, -v0
	v_fma_f16 v6, v6, 2.0, -v7
	v_pack_b32_f16 v3, v4, v3
	v_pack_b32_f16 v1, v5, v1
	;; [unrolled: 1-line block ×4, first 2 shown]
	ds_write2_b32 v74, v2, v3 offset0:16 offset1:160
	ds_write2_b32 v69, v1, v0 offset0:128 offset1:224
	s_waitcnt lgkmcnt(0)
	s_barrier
	ds_read2_b32 v[0:1], v77 offset1:96
	ds_read2_b32 v[2:3], v99 offset0:64 offset1:160
	s_waitcnt lgkmcnt(1)
	v_lshrrev_b32_e32 v4, 16, v0
	v_mul_f16_sdwa v7, v177, v0 dst_sel:DWORD dst_unused:UNUSED_PAD src0_sel:WORD_1 src1_sel:DWORD
	v_lshrrev_b32_e32 v5, 16, v1
	v_fma_f16 v7, v177, v4, -v7
	v_mul_f16_sdwa v4, v177, v4 dst_sel:DWORD dst_unused:UNUSED_PAD src0_sel:WORD_1 src1_sel:DWORD
	v_fma_f16 v4, v177, v0, v4
	v_mul_f16_sdwa v0, v176, v5 dst_sel:DWORD dst_unused:UNUSED_PAD src0_sel:WORD_1 src1_sel:DWORD
	s_waitcnt lgkmcnt(0)
	v_lshrrev_b32_e32 v6, 16, v2
	v_fma_f16 v13, v176, v1, v0
	v_mul_f16_sdwa v0, v176, v1 dst_sel:DWORD dst_unused:UNUSED_PAD src0_sel:WORD_1 src1_sel:DWORD
	v_fma_f16 v14, v176, v5, -v0
	v_mul_f16_sdwa v0, v174, v6 dst_sel:DWORD dst_unused:UNUSED_PAD src0_sel:WORD_1 src1_sel:DWORD
	v_fma_f16 v15, v174, v2, v0
	v_mul_f16_sdwa v0, v174, v2 dst_sel:DWORD dst_unused:UNUSED_PAD src0_sel:WORD_1 src1_sel:DWORD
	v_fma_f16 v16, v174, v6, -v0
	ds_read2_b32 v[0:1], v98 offset0:128 offset1:224
	v_lshrrev_b32_e32 v8, 16, v3
	v_mul_f16_sdwa v2, v172, v8 dst_sel:DWORD dst_unused:UNUSED_PAD src0_sel:WORD_1 src1_sel:DWORD
	v_fma_f16 v17, v172, v3, v2
	v_mul_f16_sdwa v2, v172, v3 dst_sel:DWORD dst_unused:UNUSED_PAD src0_sel:WORD_1 src1_sel:DWORD
	v_fma_f16 v18, v172, v8, -v2
	s_waitcnt lgkmcnt(0)
	v_lshrrev_b32_e32 v2, 16, v0
	v_mul_f16_sdwa v3, v173, v0 dst_sel:DWORD dst_unused:UNUSED_PAD src0_sel:WORD_1 src1_sel:DWORD
	v_fma_f16 v19, v173, v2, -v3
	v_mul_f16_sdwa v2, v173, v2 dst_sel:DWORD dst_unused:UNUSED_PAD src0_sel:WORD_1 src1_sel:DWORD
	v_fma_f16 v20, v173, v0, v2
	ds_read2_b32 v[2:3], v74 offset0:64 offset1:160
	v_lshrrev_b32_e32 v0, 16, v1
	v_mul_f16_sdwa v5, v171, v0 dst_sel:DWORD dst_unused:UNUSED_PAD src0_sel:WORD_1 src1_sel:DWORD
	v_fma_f16 v21, v171, v1, v5
	v_mul_f16_sdwa v1, v171, v1 dst_sel:DWORD dst_unused:UNUSED_PAD src0_sel:WORD_1 src1_sel:DWORD
	v_fma_f16 v22, v171, v0, -v1
	s_waitcnt lgkmcnt(0)
	v_lshrrev_b32_e32 v0, 16, v2
	v_mul_f16_sdwa v1, v169, v2 dst_sel:DWORD dst_unused:UNUSED_PAD src0_sel:WORD_1 src1_sel:DWORD
	v_fma_f16 v23, v169, v0, -v1
	v_mul_f16_sdwa v0, v169, v0 dst_sel:DWORD dst_unused:UNUSED_PAD src0_sel:WORD_1 src1_sel:DWORD
	v_fma_f16 v24, v169, v2, v0
	ds_read2_b32 v[0:1], v94 offset1:96
	v_lshrrev_b32_e32 v2, 16, v3
	v_mul_f16_sdwa v5, v185, v2 dst_sel:DWORD dst_unused:UNUSED_PAD src0_sel:WORD_1 src1_sel:DWORD
	v_fma_f16 v25, v185, v3, v5
	v_mul_f16_sdwa v3, v185, v3 dst_sel:DWORD dst_unused:UNUSED_PAD src0_sel:WORD_1 src1_sel:DWORD
	v_fma_f16 v26, v185, v2, -v3
	s_waitcnt lgkmcnt(0)
	v_lshrrev_b32_e32 v2, 16, v0
	v_mul_f16_sdwa v3, v186, v0 dst_sel:DWORD dst_unused:UNUSED_PAD src0_sel:WORD_1 src1_sel:DWORD
	v_fma_f16 v27, v186, v2, -v3
	v_mul_f16_sdwa v2, v186, v2 dst_sel:DWORD dst_unused:UNUSED_PAD src0_sel:WORD_1 src1_sel:DWORD
	v_fma_f16 v28, v186, v0, v2
	ds_read2_b32 v[2:3], v95 offset0:64 offset1:160
	v_lshrrev_b32_e32 v0, 16, v1
	v_mul_f16_sdwa v5, v187, v0 dst_sel:DWORD dst_unused:UNUSED_PAD src0_sel:WORD_1 src1_sel:DWORD
	v_fma_f16 v29, v187, v1, v5
	v_mul_f16_sdwa v1, v187, v1 dst_sel:DWORD dst_unused:UNUSED_PAD src0_sel:WORD_1 src1_sel:DWORD
	v_fma_f16 v30, v187, v0, -v1
	s_waitcnt lgkmcnt(0)
	v_lshrrev_b32_e32 v0, 16, v2
	v_mul_f16_sdwa v1, v188, v2 dst_sel:DWORD dst_unused:UNUSED_PAD src0_sel:WORD_1 src1_sel:DWORD
	v_fma_f16 v31, v188, v0, -v1
	v_mul_f16_sdwa v0, v188, v0 dst_sel:DWORD dst_unused:UNUSED_PAD src0_sel:WORD_1 src1_sel:DWORD
	v_fma_f16 v32, v188, v2, v0
	ds_read2_b32 v[0:1], v69 offset0:128 offset1:224
	v_lshrrev_b32_e32 v2, 16, v3
	v_mul_f16_sdwa v5, v189, v2 dst_sel:DWORD dst_unused:UNUSED_PAD src0_sel:WORD_1 src1_sel:DWORD
	v_fma_f16 v33, v189, v3, v5
	v_mul_f16_sdwa v3, v189, v3 dst_sel:DWORD dst_unused:UNUSED_PAD src0_sel:WORD_1 src1_sel:DWORD
	v_fma_f16 v34, v189, v2, -v3
	s_waitcnt lgkmcnt(0)
	v_lshrrev_b32_e32 v2, 16, v0
	v_mul_f16_sdwa v3, v190, v0 dst_sel:DWORD dst_unused:UNUSED_PAD src0_sel:WORD_1 src1_sel:DWORD
	v_fma_f16 v35, v190, v2, -v3
	v_mul_f16_sdwa v2, v190, v2 dst_sel:DWORD dst_unused:UNUSED_PAD src0_sel:WORD_1 src1_sel:DWORD
	v_fma_f16 v36, v190, v0, v2
	v_lshrrev_b32_e32 v0, 16, v1
	ds_read2_b32 v[2:3], v100 offset0:64 offset1:160
	v_mul_f16_sdwa v5, v191, v0 dst_sel:DWORD dst_unused:UNUSED_PAD src0_sel:WORD_1 src1_sel:DWORD
	v_fma_f16 v37, v191, v1, v5
	v_mul_f16_sdwa v1, v191, v1 dst_sel:DWORD dst_unused:UNUSED_PAD src0_sel:WORD_1 src1_sel:DWORD
	v_fma_f16 v38, v191, v0, -v1
	ds_read2_b32 v[0:1], v97 offset1:96
	s_waitcnt lgkmcnt(1)
	v_lshrrev_b32_e32 v5, 16, v3
	v_mul_f16_sdwa v6, v163, v3 dst_sel:DWORD dst_unused:UNUSED_PAD src0_sel:WORD_1 src1_sel:DWORD
	v_fma_f16 v6, v163, v5, -v6
	v_mul_f16_sdwa v5, v163, v5 dst_sel:DWORD dst_unused:UNUSED_PAD src0_sel:WORD_1 src1_sel:DWORD
	v_fma_f16 v3, v163, v3, v5
	s_waitcnt lgkmcnt(0)
	v_sub_f16_e32 v39, v1, v4
	v_lshrrev_b32_e32 v4, 16, v0
	v_sub_f16_e32 v3, v0, v3
	v_sub_f16_e32 v6, v4, v6
	v_lshrrev_b32_e32 v5, 16, v1
	v_fma_f16 v0, v0, 2.0, -v3
	v_fma_f16 v4, v4, 2.0, -v6
	v_pack_b32_f16 v41, v0, v4
	v_pack_b32_f16 v0, v3, v6
	v_sub_f16_e32 v42, v5, v7
	v_fma_f16 v1, v1, 2.0, -v39
	ds_write_b32 v97, v0 offset:5760
	v_fma_f16 v0, v5, 2.0, -v42
	v_pack_b32_f16 v43, v1, v0
	ds_read2_b32 v[0:1], v104 offset0:64 offset1:160
	ds_read2_b32 v[3:4], v86 offset0:128 offset1:224
	;; [unrolled: 1-line block ×3, first 2 shown]
	ds_read2_b32 v[7:8], v102 offset1:96
	ds_read2_b32 v[9:10], v80 offset0:64 offset1:160
	ds_read2_b32 v[11:12], v101 offset0:128 offset1:224
	ds_write2_b32 v97, v41, v43 offset1:96
	s_waitcnt lgkmcnt(6)
	v_lshrrev_b32_e32 v41, 16, v0
	v_sub_f16_e32 v13, v0, v13
	v_sub_f16_e32 v14, v41, v14
	v_pack_b32_f16 v39, v39, v42
	v_pack_b32_f16 v42, v13, v14
	v_fma_f16 v14, v41, 2.0, -v14
	v_fma_f16 v0, v0, 2.0, -v13
	v_sub_f16_e32 v13, v1, v15
	v_lshrrev_b32_e32 v15, 16, v1
	v_pack_b32_f16 v0, v0, v14
	v_sub_f16_e32 v14, v15, v16
	v_fma_f16 v1, v1, 2.0, -v13
	v_fma_f16 v15, v15, 2.0, -v14
	v_pack_b32_f16 v1, v1, v15
	ds_write2_b32 v104, v0, v1 offset0:64 offset1:160
	v_pack_b32_f16 v0, v13, v14
	s_waitcnt lgkmcnt(6)
	v_lshrrev_b32_e32 v13, 16, v3
	v_sub_f16_e32 v1, v3, v17
	v_sub_f16_e32 v14, v13, v18
	v_pack_b32_f16 v15, v1, v14
	ds_write2_b32 v77, v39, v42 offset1:96
	ds_write2_b32 v99, v0, v15 offset0:64 offset1:160
	v_fma_f16 v0, v13, 2.0, -v14
	v_fma_f16 v1, v3, 2.0, -v1
	v_lshrrev_b32_e32 v13, 16, v4
	v_sub_f16_e32 v3, v4, v20
	v_pack_b32_f16 v0, v1, v0
	v_sub_f16_e32 v1, v13, v19
	v_fma_f16 v4, v4, 2.0, -v3
	v_fma_f16 v13, v13, 2.0, -v1
	v_pack_b32_f16 v4, v4, v13
	ds_write2_b32 v86, v0, v4 offset0:128 offset1:224
	v_pack_b32_f16 v0, v3, v1
	s_waitcnt lgkmcnt(8)
	v_lshrrev_b32_e32 v3, 16, v5
	v_sub_f16_e32 v1, v5, v21
	v_sub_f16_e32 v4, v3, v22
	v_pack_b32_f16 v13, v1, v4
	ds_write2_b32 v98, v0, v13 offset0:128 offset1:224
	v_fma_f16 v0, v3, 2.0, -v4
	v_fma_f16 v1, v5, 2.0, -v1
	v_lshrrev_b32_e32 v4, 16, v6
	v_sub_f16_e32 v3, v6, v24
	v_pack_b32_f16 v0, v1, v0
	v_sub_f16_e32 v1, v4, v23
	v_fma_f16 v5, v6, 2.0, -v3
	v_fma_f16 v4, v4, 2.0, -v1
	v_pack_b32_f16 v4, v5, v4
	ds_write2_b32 v103, v0, v4 offset0:64 offset1:160
	v_pack_b32_f16 v0, v3, v1
	s_waitcnt lgkmcnt(9)
	v_lshrrev_b32_e32 v3, 16, v7
	v_sub_f16_e32 v1, v7, v25
	v_sub_f16_e32 v4, v3, v26
	v_pack_b32_f16 v5, v1, v4
	ds_write2_b32 v74, v0, v5 offset0:64 offset1:160
	v_fma_f16 v0, v3, 2.0, -v4
	v_lshrrev_b32_e32 v3, 16, v8
	v_fma_f16 v1, v7, 2.0, -v1
	v_sub_f16_e32 v4, v8, v28
	v_sub_f16_e32 v7, v3, v27
	v_fma_f16 v5, v8, 2.0, -v4
	v_fma_f16 v3, v3, 2.0, -v7
	v_pack_b32_f16 v0, v1, v0
	v_pack_b32_f16 v3, v5, v3
	s_waitcnt lgkmcnt(9)
	v_lshrrev_b32_e32 v6, 16, v9
	v_lshrrev_b32_e32 v1, 16, v10
	ds_write2_b32 v102, v0, v3 offset1:96
	v_sub_f16_e32 v3, v9, v29
	v_fma_f16 v8, v9, 2.0, -v3
	v_sub_f16_e32 v9, v10, v32
	v_sub_f16_e32 v16, v6, v30
	;; [unrolled: 1-line block ×3, first 2 shown]
	s_waitcnt lgkmcnt(9)
	v_lshrrev_b32_e32 v5, 16, v11
	v_lshrrev_b32_e32 v0, 16, v12
	v_fma_f16 v10, v10, 2.0, -v9
	v_lshrrev_b32_e32 v15, 16, v2
	v_fma_f16 v6, v6, 2.0, -v16
	v_fma_f16 v1, v1, 2.0, -v17
	v_sub_f16_e32 v13, v11, v33
	v_sub_f16_e32 v14, v12, v36
	;; [unrolled: 1-line block ×6, first 2 shown]
	v_pack_b32_f16 v4, v4, v7
	v_pack_b32_f16 v6, v8, v6
	;; [unrolled: 1-line block ×4, first 2 shown]
	v_fma_f16 v11, v11, 2.0, -v13
	v_fma_f16 v12, v12, 2.0, -v14
	;; [unrolled: 1-line block ×6, first 2 shown]
	ds_write2_b32 v94, v4, v3 offset1:96
	ds_write2_b32 v80, v6, v1 offset0:64 offset1:160
	v_pack_b32_f16 v1, v9, v17
	v_pack_b32_f16 v4, v13, v18
	;; [unrolled: 1-line block ×3, first 2 shown]
	ds_write2_b32 v95, v1, v4 offset0:64 offset1:160
	v_pack_b32_f16 v0, v12, v0
	v_pack_b32_f16 v1, v2, v15
	ds_write2_b32 v101, v3, v0 offset0:128 offset1:224
	v_pack_b32_f16 v0, v14, v19
	ds_write_b32 v97, v1 offset:5376
	v_pack_b32_f16 v1, v20, v21
	ds_write2_b32 v69, v0, v1 offset0:128 offset1:224
	s_waitcnt lgkmcnt(0)
	s_barrier
	ds_read2_b32 v[5:6], v97 offset1:96
	v_mad_u64_u32 v[2:3], s[0:1], s10, v40, 0
	v_mov_b32_e32 v15, 0x7c00
	s_movk_i32 s10, 0x40f
	s_waitcnt lgkmcnt(0)
	v_lshrrev_b32_e32 v7, 16, v5
	v_mul_f16_sdwa v0, v96, v7 dst_sel:DWORD dst_unused:UNUSED_PAD src0_sel:WORD_1 src1_sel:DWORD
	v_fma_f16 v0, v96, v5, v0
	v_cvt_f32_f16_e32 v0, v0
	v_mad_u64_u32 v[3:4], s[0:1], s11, v40, v[3:4]
	v_mul_f16_sdwa v5, v96, v5 dst_sel:DWORD dst_unused:UNUSED_PAD src0_sel:WORD_1 src1_sel:DWORD
	v_cvt_f64_f32_e32 v[0:1], v0
	v_fma_f16 v5, v96, v7, -v5
	v_cvt_f32_f16_e32 v5, v5
	s_mov_b32 s11, 0x8000
	v_mul_f64 v[0:1], v[0:1], s[2:3]
	v_lshlrev_b64 v[2:3], 2, v[2:3]
	v_and_or_b32 v0, v1, s6, v0
	v_cmp_ne_u32_e32 vcc, 0, v0
	v_cndmask_b32_e64 v0, 0, 1, vcc
	v_lshrrev_b32_e32 v4, 8, v1
	v_bfe_u32 v8, v1, 20, 11
	v_and_or_b32 v0, v4, s7, v0
	v_sub_u32_e32 v9, 0x3f1, v8
	v_or_b32_e32 v4, 0x1000, v0
	v_med3_i32 v9, v9, 0, 13
	v_lshrrev_b32_e32 v10, v9, v4
	v_lshlrev_b32_e32 v9, v9, v10
	v_cmp_ne_u32_e32 vcc, v9, v4
	v_cndmask_b32_e64 v4, 0, 1, vcc
	v_add_u32_e32 v8, 0xfffffc10, v8
	v_or_b32_e32 v4, v10, v4
	v_lshl_or_b32 v9, v8, 12, v0
	v_cmp_gt_i32_e32 vcc, 1, v8
	v_cndmask_b32_e32 v4, v9, v4, vcc
	v_and_b32_e32 v9, 7, v4
	v_cmp_lt_i32_e32 vcc, 5, v9
	v_cmp_eq_u32_e64 s[0:1], 3, v9
	v_lshrrev_b32_e32 v4, 2, v4
	s_or_b64 vcc, s[0:1], vcc
	v_addc_co_u32_e32 v7, vcc, 0, v4, vcc
	v_cvt_f64_f32_e32 v[4:5], v5
	v_cmp_gt_i32_e32 vcc, 31, v8
	v_cndmask_b32_e32 v7, v15, v7, vcc
	v_cmp_ne_u32_e32 vcc, 0, v0
	v_mul_f64 v[4:5], v[4:5], s[2:3]
	v_cndmask_b32_e64 v0, 0, 1, vcc
	v_lshl_or_b32 v0, v0, 9, v15
	v_cmp_eq_u32_e32 vcc, s10, v8
	v_cndmask_b32_e32 v0, v7, v0, vcc
	v_lshrrev_b32_e32 v1, 16, v1
	v_and_or_b32 v9, v1, s11, v0
	v_and_b32_e32 v9, 0xffff, v9
	v_and_or_b32 v0, v5, s6, v4
	v_cmp_ne_u32_e32 vcc, 0, v0
	v_cndmask_b32_e64 v0, 0, 1, vcc
	v_lshrrev_b32_e32 v1, 8, v5
	v_bfe_u32 v4, v5, 20, 11
	v_and_or_b32 v0, v1, s7, v0
	v_sub_u32_e32 v7, 0x3f1, v4
	v_or_b32_e32 v1, 0x1000, v0
	v_med3_i32 v7, v7, 0, 13
	v_lshrrev_b32_e32 v8, v7, v1
	v_lshlrev_b32_e32 v7, v7, v8
	v_cmp_ne_u32_e32 vcc, v7, v1
	v_cndmask_b32_e64 v1, 0, 1, vcc
	v_add_u32_e32 v4, 0xfffffc10, v4
	v_or_b32_e32 v1, v8, v1
	v_lshl_or_b32 v7, v4, 12, v0
	v_cmp_gt_i32_e32 vcc, 1, v4
	v_cndmask_b32_e32 v1, v7, v1, vcc
	v_and_b32_e32 v7, 7, v1
	v_cmp_lt_i32_e32 vcc, 5, v7
	v_cmp_eq_u32_e64 s[0:1], 3, v7
	v_lshrrev_b32_e32 v1, 2, v1
	s_or_b64 vcc, s[0:1], vcc
	v_addc_co_u32_e32 v1, vcc, 0, v1, vcc
	v_cmp_gt_i32_e32 vcc, 31, v4
	v_cndmask_b32_e32 v1, v15, v1, vcc
	v_cmp_ne_u32_e32 vcc, 0, v0
	v_cndmask_b32_e64 v0, 0, 1, vcc
	v_lshl_or_b32 v0, v0, 9, v15
	v_cmp_eq_u32_e32 vcc, s10, v4
	v_mad_u64_u32 v[7:8], s[0:1], s8, v93, 0
	v_cndmask_b32_e32 v10, v1, v0, vcc
	ds_read2_b32 v[0:1], v104 offset0:64 offset1:160
	v_mov_b32_e32 v4, v8
	v_lshrrev_b32_e32 v11, 16, v5
	v_mad_u64_u32 v[4:5], s[0:1], s9, v93, v[4:5]
	s_waitcnt lgkmcnt(0)
	v_lshrrev_b32_e32 v12, 16, v1
	v_mul_f16_sdwa v5, v92, v12 dst_sel:DWORD dst_unused:UNUSED_PAD src0_sel:WORD_1 src1_sel:DWORD
	v_fma_f16 v5, v92, v1, v5
	v_cvt_f32_f16_e32 v5, v5
	v_mov_b32_e32 v8, v4
	v_and_or_b32 v10, v11, s11, v10
	v_lshl_or_b32 v9, v10, 16, v9
	v_cvt_f64_f32_e32 v[4:5], v5
	v_mov_b32_e32 v10, s5
	v_add_co_u32_e32 v16, vcc, s4, v2
	v_mul_f64 v[4:5], v[4:5], s[2:3]
	v_addc_co_u32_e32 v17, vcc, v10, v3, vcc
	v_lshlrev_b64 v[2:3], 2, v[7:8]
	v_mul_f16_sdwa v1, v92, v1 dst_sel:DWORD dst_unused:UNUSED_PAD src0_sel:WORD_1 src1_sel:DWORD
	v_add_co_u32_e32 v2, vcc, v16, v2
	v_addc_co_u32_e32 v3, vcc, v17, v3, vcc
	v_and_or_b32 v4, v5, s6, v4
	v_cmp_ne_u32_e32 vcc, 0, v4
	v_cndmask_b32_e64 v4, 0, 1, vcc
	v_lshrrev_b32_e32 v7, 8, v5
	v_bfe_u32 v8, v5, 20, 11
	global_store_dword v[2:3], v9, off
	v_and_or_b32 v4, v7, s7, v4
	v_sub_u32_e32 v9, 0x3f1, v8
	v_or_b32_e32 v7, 0x1000, v4
	v_med3_i32 v9, v9, 0, 13
	v_lshrrev_b32_e32 v10, v9, v7
	v_lshlrev_b32_e32 v9, v9, v10
	v_cmp_ne_u32_e32 vcc, v9, v7
	v_cndmask_b32_e64 v7, 0, 1, vcc
	v_fma_f16 v1, v92, v12, -v1
	v_or_b32_e32 v7, v10, v7
	v_add_u32_e32 v10, 0xfffffc10, v8
	v_cvt_f32_f16_e32 v1, v1
	v_lshl_or_b32 v8, v10, 12, v4
	v_cmp_gt_i32_e32 vcc, 1, v10
	v_cndmask_b32_e32 v7, v8, v7, vcc
	v_and_b32_e32 v8, 7, v7
	v_cmp_lt_i32_e32 vcc, 5, v8
	v_cmp_eq_u32_e64 s[0:1], 3, v8
	v_lshrrev_b32_e32 v9, 2, v7
	v_cvt_f64_f32_e32 v[7:8], v1
	s_or_b64 vcc, s[0:1], vcc
	v_addc_co_u32_e32 v1, vcc, 0, v9, vcc
	v_mul_f64 v[8:9], v[7:8], s[2:3]
	v_cmp_gt_i32_e32 vcc, 31, v10
	v_cndmask_b32_e32 v1, v15, v1, vcc
	v_cmp_ne_u32_e32 vcc, 0, v4
	v_cndmask_b32_e64 v4, 0, 1, vcc
	v_lshl_or_b32 v4, v4, 9, v15
	v_cmp_eq_u32_e32 vcc, s10, v10
	v_cndmask_b32_e32 v1, v1, v4, vcc
	v_lshrrev_b32_e32 v4, 16, v5
	v_and_or_b32 v1, v4, s11, v1
	v_and_or_b32 v4, v9, s6, v8
	v_cmp_ne_u32_e32 vcc, 0, v4
	v_cndmask_b32_e64 v4, 0, 1, vcc
	v_lshrrev_b32_e32 v5, 8, v9
	v_bfe_u32 v7, v9, 20, 11
	v_and_or_b32 v4, v5, s7, v4
	v_sub_u32_e32 v8, 0x3f1, v7
	v_or_b32_e32 v5, 0x1000, v4
	v_med3_i32 v8, v8, 0, 13
	v_lshrrev_b32_e32 v10, v8, v5
	v_lshlrev_b32_e32 v8, v8, v10
	v_cmp_ne_u32_e32 vcc, v8, v5
	v_cndmask_b32_e64 v5, 0, 1, vcc
	v_or_b32_e32 v5, v10, v5
	v_add_u32_e32 v10, 0xfffffc10, v7
	v_lshl_or_b32 v7, v10, 12, v4
	v_cmp_gt_i32_e32 vcc, 1, v10
	v_cndmask_b32_e32 v5, v7, v5, vcc
	v_and_b32_e32 v7, 7, v5
	v_cmp_lt_i32_e32 vcc, 5, v7
	v_cmp_eq_u32_e64 s[0:1], 3, v7
	v_lshrrev_b32_e32 v5, 2, v5
	s_or_b64 vcc, s[0:1], vcc
	ds_read2_b32 v[7:8], v103 offset0:64 offset1:160
	v_addc_co_u32_e32 v5, vcc, 0, v5, vcc
	v_cmp_gt_i32_e32 vcc, 31, v10
	v_cndmask_b32_e32 v5, v15, v5, vcc
	v_cmp_ne_u32_e32 vcc, 0, v4
	v_cndmask_b32_e64 v4, 0, 1, vcc
	v_lshl_or_b32 v4, v4, 9, v15
	v_cmp_eq_u32_e32 vcc, s10, v10
	s_waitcnt lgkmcnt(0)
	v_lshrrev_b32_e32 v11, 16, v7
	v_cndmask_b32_e32 v4, v5, v4, vcc
	v_lshrrev_b32_e32 v5, 16, v9
	v_mul_f16_sdwa v9, v91, v11 dst_sel:DWORD dst_unused:UNUSED_PAD src0_sel:WORD_1 src1_sel:DWORD
	v_fma_f16 v9, v91, v7, v9
	v_cvt_f32_f16_e32 v9, v9
	v_and_or_b32 v4, v5, s11, v4
	v_and_b32_e32 v1, 0xffff, v1
	v_lshl_or_b32 v1, v4, 16, v1
	v_cvt_f64_f32_e32 v[4:5], v9
	s_mul_i32 s0, s9, 0x480
	s_mul_hi_u32 s4, s8, 0x480
	s_add_i32 s4, s4, s0
	v_mul_f64 v[4:5], v[4:5], s[2:3]
	s_mul_i32 s5, s8, 0x480
	v_mov_b32_e32 v10, s4
	v_add_co_u32_e32 v9, vcc, s5, v2
	v_addc_co_u32_e32 v10, vcc, v3, v10, vcc
	global_store_dword v[9:10], v1, off
	v_and_or_b32 v1, v5, s6, v4
	v_cmp_ne_u32_e32 vcc, 0, v1
	v_cndmask_b32_e64 v1, 0, 1, vcc
	v_lshrrev_b32_e32 v2, 8, v5
	v_and_or_b32 v4, v2, s7, v1
	v_bfe_u32 v2, v5, 20, 11
	v_sub_u32_e32 v3, 0x3f1, v2
	v_or_b32_e32 v1, 0x1000, v4
	v_med3_i32 v3, v3, 0, 13
	v_lshrrev_b32_e32 v12, v3, v1
	v_lshlrev_b32_e32 v3, v3, v12
	v_cmp_ne_u32_e32 vcc, v3, v1
	v_mul_f16_sdwa v3, v91, v7 dst_sel:DWORD dst_unused:UNUSED_PAD src0_sel:WORD_1 src1_sel:DWORD
	v_cndmask_b32_e64 v1, 0, 1, vcc
	v_fma_f16 v3, v91, v11, -v3
	v_or_b32_e32 v1, v12, v1
	v_add_u32_e32 v12, 0xfffffc10, v2
	v_cvt_f32_f16_e32 v3, v3
	v_lshl_or_b32 v2, v12, 12, v4
	v_cmp_gt_i32_e32 vcc, 1, v12
	v_cndmask_b32_e32 v1, v2, v1, vcc
	v_and_b32_e32 v2, 7, v1
	v_cmp_lt_i32_e32 vcc, 5, v2
	v_cmp_eq_u32_e64 s[0:1], 3, v2
	v_lshrrev_b32_e32 v7, 2, v1
	v_cvt_f64_f32_e32 v[1:2], v3
	s_or_b64 vcc, s[0:1], vcc
	v_addc_co_u32_e32 v3, vcc, 0, v7, vcc
	v_cmp_gt_i32_e32 vcc, 31, v12
	v_cndmask_b32_e32 v7, v15, v3, vcc
	v_mul_f64 v[2:3], v[1:2], s[2:3]
	v_cmp_ne_u32_e32 vcc, 0, v4
	v_cndmask_b32_e64 v1, 0, 1, vcc
	v_lshl_or_b32 v1, v1, 9, v15
	v_cmp_eq_u32_e32 vcc, s10, v12
	v_cndmask_b32_e32 v1, v7, v1, vcc
	v_lshrrev_b32_e32 v4, 16, v5
	v_and_or_b32 v7, v4, s11, v1
	v_and_or_b32 v1, v3, s6, v2
	v_cmp_ne_u32_e32 vcc, 0, v1
	v_cndmask_b32_e64 v1, 0, 1, vcc
	v_lshrrev_b32_e32 v2, 8, v3
	v_and_or_b32 v4, v2, s7, v1
	v_bfe_u32 v2, v3, 20, 11
	v_sub_u32_e32 v5, 0x3f1, v2
	v_or_b32_e32 v1, 0x1000, v4
	v_med3_i32 v5, v5, 0, 13
	v_lshrrev_b32_e32 v11, v5, v1
	v_lshlrev_b32_e32 v5, v5, v11
	v_cmp_ne_u32_e32 vcc, v5, v1
	v_cndmask_b32_e64 v1, 0, 1, vcc
	v_add_u32_e32 v5, 0xfffffc10, v2
	v_or_b32_e32 v1, v11, v1
	v_lshl_or_b32 v2, v5, 12, v4
	v_cmp_gt_i32_e32 vcc, 1, v5
	v_cndmask_b32_e32 v1, v2, v1, vcc
	v_and_b32_e32 v2, 7, v1
	v_cmp_lt_i32_e32 vcc, 5, v2
	v_cmp_eq_u32_e64 s[0:1], 3, v2
	v_lshrrev_b32_e32 v1, 2, v1
	s_or_b64 vcc, s[0:1], vcc
	v_addc_co_u32_e32 v11, vcc, 0, v1, vcc
	ds_read2_b32 v[1:2], v102 offset1:96
	v_cmp_gt_i32_e32 vcc, 31, v5
	v_cndmask_b32_e32 v11, v15, v11, vcc
	v_cmp_ne_u32_e32 vcc, 0, v4
	v_cndmask_b32_e64 v4, 0, 1, vcc
	s_waitcnt lgkmcnt(0)
	v_lshrrev_b32_e32 v13, 16, v2
	v_mul_f16_sdwa v12, v89, v13 dst_sel:DWORD dst_unused:UNUSED_PAD src0_sel:WORD_1 src1_sel:DWORD
	v_fma_f16 v12, v89, v2, v12
	v_cvt_f32_f16_e32 v12, v12
	v_lshl_or_b32 v4, v4, 9, v15
	v_cmp_eq_u32_e32 vcc, s10, v5
	v_cndmask_b32_e32 v11, v11, v4, vcc
	v_cvt_f64_f32_e32 v[4:5], v12
	v_lshrrev_b32_e32 v3, 16, v3
	v_and_or_b32 v11, v3, s11, v11
	v_and_b32_e32 v7, 0xffff, v7
	v_mul_f64 v[3:4], v[4:5], s[2:3]
	v_lshl_or_b32 v5, v11, 16, v7
	v_mov_b32_e32 v7, s4
	v_add_co_u32_e32 v11, vcc, s5, v9
	v_addc_co_u32_e32 v12, vcc, v10, v7, vcc
	global_store_dword v[11:12], v5, off
	v_and_or_b32 v3, v4, s6, v3
	v_cmp_ne_u32_e32 vcc, 0, v3
	v_cndmask_b32_e64 v3, 0, 1, vcc
	v_lshrrev_b32_e32 v5, 8, v4
	v_bfe_u32 v7, v4, 20, 11
	v_and_or_b32 v5, v5, s7, v3
	v_sub_u32_e32 v9, 0x3f1, v7
	v_or_b32_e32 v3, 0x1000, v5
	v_med3_i32 v9, v9, 0, 13
	v_lshrrev_b32_e32 v10, v9, v3
	v_lshlrev_b32_e32 v9, v9, v10
	v_mul_f16_sdwa v2, v89, v2 dst_sel:DWORD dst_unused:UNUSED_PAD src0_sel:WORD_1 src1_sel:DWORD
	v_cmp_ne_u32_e32 vcc, v9, v3
	v_fma_f16 v2, v89, v13, -v2
	v_cndmask_b32_e64 v3, 0, 1, vcc
	v_add_u32_e32 v7, 0xfffffc10, v7
	v_cvt_f32_f16_e32 v2, v2
	v_or_b32_e32 v3, v10, v3
	v_lshl_or_b32 v9, v7, 12, v5
	v_cmp_gt_i32_e32 vcc, 1, v7
	v_cndmask_b32_e32 v3, v9, v3, vcc
	v_and_b32_e32 v9, 7, v3
	v_cmp_lt_i32_e32 vcc, 5, v9
	v_cmp_eq_u32_e64 s[0:1], 3, v9
	v_lshrrev_b32_e32 v9, 2, v3
	v_cvt_f64_f32_e32 v[2:3], v2
	s_or_b64 vcc, s[0:1], vcc
	v_addc_co_u32_e32 v9, vcc, 0, v9, vcc
	v_mul_f64 v[2:3], v[2:3], s[2:3]
	v_cmp_gt_i32_e32 vcc, 31, v7
	v_cndmask_b32_e32 v9, v15, v9, vcc
	v_cmp_ne_u32_e32 vcc, 0, v5
	v_cndmask_b32_e64 v5, 0, 1, vcc
	v_lshl_or_b32 v5, v5, 9, v15
	v_cmp_eq_u32_e32 vcc, s10, v7
	v_cndmask_b32_e32 v5, v9, v5, vcc
	v_and_or_b32 v2, v3, s6, v2
	v_lshrrev_b32_e32 v4, 16, v4
	v_cmp_ne_u32_e32 vcc, 0, v2
	v_and_or_b32 v7, v4, s11, v5
	v_cndmask_b32_e64 v2, 0, 1, vcc
	v_lshrrev_b32_e32 v4, 8, v3
	v_bfe_u32 v5, v3, 20, 11
	v_and_or_b32 v2, v4, s7, v2
	v_sub_u32_e32 v9, 0x3f1, v5
	v_or_b32_e32 v4, 0x1000, v2
	v_med3_i32 v9, v9, 0, 13
	v_lshrrev_b32_e32 v10, v9, v4
	v_lshlrev_b32_e32 v9, v9, v10
	v_cmp_ne_u32_e32 vcc, v9, v4
	v_cndmask_b32_e64 v4, 0, 1, vcc
	v_add_u32_e32 v5, 0xfffffc10, v5
	v_or_b32_e32 v4, v10, v4
	v_lshl_or_b32 v9, v5, 12, v2
	v_cmp_gt_i32_e32 vcc, 1, v5
	v_cndmask_b32_e32 v4, v9, v4, vcc
	v_and_b32_e32 v9, 7, v4
	v_cmp_lt_i32_e32 vcc, 5, v9
	v_cmp_eq_u32_e64 s[0:1], 3, v9
	ds_read2_b32 v[9:10], v101 offset0:128 offset1:224
	v_lshrrev_b32_e32 v4, 2, v4
	s_or_b64 vcc, s[0:1], vcc
	v_addc_co_u32_e32 v4, vcc, 0, v4, vcc
	s_waitcnt lgkmcnt(0)
	v_lshrrev_b32_e32 v13, 16, v9
	v_mul_f16_sdwa v14, v88, v13 dst_sel:DWORD dst_unused:UNUSED_PAD src0_sel:WORD_1 src1_sel:DWORD
	v_fma_f16 v14, v88, v9, v14
	v_cmp_gt_i32_e32 vcc, 31, v5
	v_cvt_f32_f16_e32 v14, v14
	v_cndmask_b32_e32 v4, v15, v4, vcc
	v_cmp_ne_u32_e32 vcc, 0, v2
	v_cndmask_b32_e64 v2, 0, 1, vcc
	v_lshl_or_b32 v2, v2, 9, v15
	v_cmp_eq_u32_e32 vcc, s10, v5
	v_cndmask_b32_e32 v2, v4, v2, vcc
	v_cvt_f64_f32_e32 v[4:5], v14
	v_lshrrev_b32_e32 v3, 16, v3
	v_and_or_b32 v14, v3, s11, v2
	v_and_b32_e32 v7, 0xffff, v7
	v_mul_f64 v[2:3], v[4:5], s[2:3]
	v_mov_b32_e32 v5, s4
	v_add_co_u32_e32 v4, vcc, s5, v11
	v_addc_co_u32_e32 v5, vcc, v12, v5, vcc
	v_lshl_or_b32 v7, v14, 16, v7
	global_store_dword v[4:5], v7, off
	v_and_or_b32 v2, v3, s6, v2
	v_cmp_ne_u32_e32 vcc, 0, v2
	v_cndmask_b32_e64 v2, 0, 1, vcc
	v_lshrrev_b32_e32 v7, 8, v3
	v_bfe_u32 v11, v3, 20, 11
	v_and_or_b32 v2, v7, s7, v2
	v_sub_u32_e32 v12, 0x3f1, v11
	v_or_b32_e32 v7, 0x1000, v2
	v_med3_i32 v12, v12, 0, 13
	v_lshrrev_b32_e32 v14, v12, v7
	v_lshlrev_b32_e32 v12, v12, v14
	v_cmp_ne_u32_e32 vcc, v12, v7
	v_mul_f16_sdwa v9, v88, v9 dst_sel:DWORD dst_unused:UNUSED_PAD src0_sel:WORD_1 src1_sel:DWORD
	v_cndmask_b32_e64 v7, 0, 1, vcc
	v_fma_f16 v9, v88, v13, -v9
	v_or_b32_e32 v7, v14, v7
	v_add_u32_e32 v14, 0xfffffc10, v11
	v_cvt_f32_f16_e32 v9, v9
	v_lshl_or_b32 v11, v14, 12, v2
	v_cmp_gt_i32_e32 vcc, 1, v14
	v_cndmask_b32_e32 v7, v11, v7, vcc
	v_and_b32_e32 v11, 7, v7
	v_cmp_lt_i32_e32 vcc, 5, v11
	v_cmp_eq_u32_e64 s[0:1], 3, v11
	v_cvt_f64_f32_e32 v[11:12], v9
	v_lshrrev_b32_e32 v7, 2, v7
	s_or_b64 vcc, s[0:1], vcc
	v_addc_co_u32_e32 v7, vcc, 0, v7, vcc
	v_mul_f64 v[11:12], v[11:12], s[2:3]
	v_cmp_gt_i32_e32 vcc, 31, v14
	v_cndmask_b32_e32 v7, v15, v7, vcc
	v_cmp_ne_u32_e32 vcc, 0, v2
	v_cndmask_b32_e64 v2, 0, 1, vcc
	v_lshl_or_b32 v2, v2, 9, v15
	v_cmp_eq_u32_e32 vcc, s10, v14
	v_cndmask_b32_e32 v2, v7, v2, vcc
	v_lshrrev_b32_e32 v3, 16, v3
	v_and_or_b32 v9, v3, s11, v2
	v_and_or_b32 v2, v12, s6, v11
	v_cmp_ne_u32_e32 vcc, 0, v2
	v_cndmask_b32_e64 v2, 0, 1, vcc
	v_lshrrev_b32_e32 v3, 8, v12
	v_bfe_u32 v7, v12, 20, 11
	v_and_or_b32 v2, v3, s7, v2
	v_sub_u32_e32 v11, 0x3f1, v7
	v_or_b32_e32 v3, 0x1000, v2
	v_med3_i32 v11, v11, 0, 13
	v_lshrrev_b32_e32 v13, v11, v3
	v_lshlrev_b32_e32 v11, v11, v13
	v_cmp_ne_u32_e32 vcc, v11, v3
	v_cndmask_b32_e64 v3, 0, 1, vcc
	v_add_u32_e32 v7, 0xfffffc10, v7
	v_or_b32_e32 v3, v13, v3
	v_lshl_or_b32 v11, v7, 12, v2
	v_cmp_gt_i32_e32 vcc, 1, v7
	v_cndmask_b32_e32 v3, v11, v3, vcc
	v_and_b32_e32 v11, 7, v3
	v_cmp_lt_i32_e32 vcc, 5, v11
	v_cmp_eq_u32_e64 s[0:1], 3, v11
	v_lshrrev_b32_e32 v3, 2, v3
	s_or_b64 vcc, s[0:1], vcc
	v_addc_co_u32_e32 v3, vcc, 0, v3, vcc
	v_cmp_gt_i32_e32 vcc, 31, v7
	v_cndmask_b32_e32 v11, v15, v3, vcc
	v_cmp_ne_u32_e32 vcc, 0, v2
	ds_read2_b32 v[2:3], v100 offset0:64 offset1:160
	v_cndmask_b32_e64 v18, 0, 1, vcc
	v_lshl_or_b32 v18, v18, 9, v15
	v_cmp_eq_u32_e32 vcc, s10, v7
	v_cndmask_b32_e32 v20, v11, v18, vcc
	s_waitcnt lgkmcnt(0)
	v_lshrrev_b32_e32 v21, 16, v3
	v_mul_f16_sdwa v11, v84, v21 dst_sel:DWORD dst_unused:UNUSED_PAD src0_sel:WORD_1 src1_sel:DWORD
	v_mad_u64_u32 v[13:14], s[0:1], s8, v83, 0
	v_fma_f16 v11, v84, v3, v11
	v_cvt_f32_f16_e32 v11, v11
	v_mov_b32_e32 v7, v14
	v_mad_u64_u32 v[18:19], s[0:1], s9, v83, v[7:8]
	v_lshrrev_b32_e32 v7, 16, v12
	v_cvt_f64_f32_e32 v[11:12], v11
	v_mov_b32_e32 v14, v18
	v_lshlrev_b64 v[13:14], 2, v[13:14]
	v_and_or_b32 v7, v7, s11, v20
	v_mul_f64 v[11:12], v[11:12], s[2:3]
	v_and_b32_e32 v9, 0xffff, v9
	v_add_co_u32_e32 v13, vcc, v16, v13
	v_lshl_or_b32 v7, v7, 16, v9
	v_addc_co_u32_e32 v14, vcc, v17, v14, vcc
	global_store_dword v[13:14], v7, off
	v_and_or_b32 v7, v12, s6, v11
	v_cmp_ne_u32_e32 vcc, 0, v7
	v_cndmask_b32_e64 v7, 0, 1, vcc
	v_lshrrev_b32_e32 v9, 8, v12
	v_bfe_u32 v11, v12, 20, 11
	v_and_or_b32 v7, v9, s7, v7
	v_sub_u32_e32 v13, 0x3f1, v11
	v_or_b32_e32 v9, 0x1000, v7
	v_med3_i32 v13, v13, 0, 13
	v_lshrrev_b32_e32 v14, v13, v9
	v_lshlrev_b32_e32 v13, v13, v14
	v_mul_f16_sdwa v3, v84, v3 dst_sel:DWORD dst_unused:UNUSED_PAD src0_sel:WORD_1 src1_sel:DWORD
	v_cmp_ne_u32_e32 vcc, v13, v9
	v_fma_f16 v3, v84, v21, -v3
	v_cndmask_b32_e64 v9, 0, 1, vcc
	v_add_u32_e32 v11, 0xfffffc10, v11
	v_cvt_f32_f16_e32 v3, v3
	v_or_b32_e32 v9, v14, v9
	v_lshl_or_b32 v13, v11, 12, v7
	v_cmp_gt_i32_e32 vcc, 1, v11
	v_cndmask_b32_e32 v9, v13, v9, vcc
	v_and_b32_e32 v13, 7, v9
	v_cmp_lt_i32_e32 vcc, 5, v13
	v_cmp_eq_u32_e64 s[0:1], 3, v13
	v_cvt_f64_f32_e32 v[13:14], v3
	v_lshrrev_b32_e32 v9, 2, v9
	s_or_b64 vcc, s[0:1], vcc
	v_addc_co_u32_e32 v3, vcc, 0, v9, vcc
	v_mul_f64 v[13:14], v[13:14], s[2:3]
	v_cmp_gt_i32_e32 vcc, 31, v11
	v_cndmask_b32_e32 v3, v15, v3, vcc
	v_cmp_ne_u32_e32 vcc, 0, v7
	v_cndmask_b32_e64 v7, 0, 1, vcc
	v_lshl_or_b32 v7, v7, 9, v15
	v_cmp_eq_u32_e32 vcc, s10, v11
	v_cndmask_b32_e32 v3, v3, v7, vcc
	v_lshrrev_b32_e32 v7, 16, v12
	v_and_or_b32 v3, v7, s11, v3
	v_and_or_b32 v7, v14, s6, v13
	v_cmp_ne_u32_e32 vcc, 0, v7
	v_cndmask_b32_e64 v7, 0, 1, vcc
	v_lshrrev_b32_e32 v9, 8, v14
	v_bfe_u32 v11, v14, 20, 11
	v_and_or_b32 v7, v9, s7, v7
	v_sub_u32_e32 v12, 0x3f1, v11
	v_or_b32_e32 v9, 0x1000, v7
	v_med3_i32 v12, v12, 0, 13
	v_lshrrev_b32_e32 v13, v12, v9
	v_lshlrev_b32_e32 v12, v12, v13
	v_cmp_ne_u32_e32 vcc, v12, v9
	v_cndmask_b32_e64 v9, 0, 1, vcc
	v_or_b32_e32 v9, v13, v9
	v_add_u32_e32 v13, 0xfffffc10, v11
	v_lshl_or_b32 v11, v13, 12, v7
	v_cmp_gt_i32_e32 vcc, 1, v13
	v_cndmask_b32_e32 v9, v11, v9, vcc
	v_and_b32_e32 v11, 7, v9
	v_cmp_lt_i32_e32 vcc, 5, v11
	v_cmp_eq_u32_e64 s[0:1], 3, v11
	ds_read2_b32 v[11:12], v99 offset0:64 offset1:160
	v_lshrrev_b32_e32 v9, 2, v9
	s_or_b64 vcc, s[0:1], vcc
	v_addc_co_u32_e32 v9, vcc, 0, v9, vcc
	v_cmp_gt_i32_e32 vcc, 31, v13
	v_cndmask_b32_e32 v9, v15, v9, vcc
	v_cmp_ne_u32_e32 vcc, 0, v7
	s_waitcnt lgkmcnt(0)
	v_lshrrev_b32_e32 v20, 16, v11
	v_cndmask_b32_e64 v7, 0, 1, vcc
	v_cmp_eq_u32_e32 vcc, s10, v13
	v_mul_f16_sdwa v13, v90, v20 dst_sel:DWORD dst_unused:UNUSED_PAD src0_sel:WORD_1 src1_sel:DWORD
	v_fma_f16 v13, v90, v11, v13
	v_cvt_f32_f16_e32 v13, v13
	v_lshl_or_b32 v7, v7, 9, v15
	v_cndmask_b32_e32 v7, v9, v7, vcc
	v_lshrrev_b32_e32 v9, 16, v14
	v_cvt_f64_f32_e32 v[13:14], v13
	s_mul_i32 s0, s9, 0x900
	v_and_or_b32 v7, v9, s11, v7
	v_and_b32_e32 v3, 0xffff, v3
	v_mul_f64 v[13:14], v[13:14], s[2:3]
	s_add_i32 s12, s12, s0
	v_lshl_or_b32 v3, v7, 16, v3
	v_mov_b32_e32 v7, s12
	v_add_co_u32_e32 v18, vcc, s13, v4
	v_addc_co_u32_e32 v19, vcc, v5, v7, vcc
	global_store_dword v[18:19], v3, off
	v_and_or_b32 v3, v14, s6, v13
	v_cmp_ne_u32_e32 vcc, 0, v3
	v_cndmask_b32_e64 v3, 0, 1, vcc
	v_lshrrev_b32_e32 v4, 8, v14
	v_and_or_b32 v7, v4, s7, v3
	v_bfe_u32 v4, v14, 20, 11
	v_sub_u32_e32 v5, 0x3f1, v4
	v_or_b32_e32 v3, 0x1000, v7
	v_med3_i32 v5, v5, 0, 13
	v_lshrrev_b32_e32 v9, v5, v3
	v_lshlrev_b32_e32 v5, v5, v9
	v_cmp_ne_u32_e32 vcc, v5, v3
	v_mul_f16_sdwa v5, v90, v11 dst_sel:DWORD dst_unused:UNUSED_PAD src0_sel:WORD_1 src1_sel:DWORD
	v_cndmask_b32_e64 v3, 0, 1, vcc
	v_fma_f16 v5, v90, v20, -v5
	v_or_b32_e32 v3, v9, v3
	v_add_u32_e32 v9, 0xfffffc10, v4
	v_cvt_f32_f16_e32 v5, v5
	v_lshl_or_b32 v4, v9, 12, v7
	v_cmp_gt_i32_e32 vcc, 1, v9
	v_cndmask_b32_e32 v3, v4, v3, vcc
	v_and_b32_e32 v4, 7, v3
	v_cmp_lt_i32_e32 vcc, 5, v4
	v_cmp_eq_u32_e64 s[0:1], 3, v4
	v_lshrrev_b32_e32 v11, 2, v3
	v_cvt_f64_f32_e32 v[3:4], v5
	s_or_b64 vcc, s[0:1], vcc
	v_addc_co_u32_e32 v5, vcc, 0, v11, vcc
	v_cmp_gt_i32_e32 vcc, 31, v9
	v_cndmask_b32_e32 v11, v15, v5, vcc
	v_mul_f64 v[4:5], v[3:4], s[2:3]
	v_cmp_ne_u32_e32 vcc, 0, v7
	v_cndmask_b32_e64 v3, 0, 1, vcc
	v_lshl_or_b32 v3, v3, 9, v15
	v_cmp_eq_u32_e32 vcc, s10, v9
	v_cndmask_b32_e32 v3, v11, v3, vcc
	v_lshrrev_b32_e32 v7, 16, v14
	v_and_or_b32 v7, v7, s11, v3
	v_and_or_b32 v3, v5, s6, v4
	v_cmp_ne_u32_e32 vcc, 0, v3
	v_cndmask_b32_e64 v3, 0, 1, vcc
	v_lshrrev_b32_e32 v4, 8, v5
	v_and_or_b32 v9, v4, s7, v3
	v_bfe_u32 v4, v5, 20, 11
	v_sub_u32_e32 v11, 0x3f1, v4
	v_or_b32_e32 v3, 0x1000, v9
	v_med3_i32 v11, v11, 0, 13
	v_lshrrev_b32_e32 v13, v11, v3
	v_lshlrev_b32_e32 v11, v11, v13
	v_cmp_ne_u32_e32 vcc, v11, v3
	v_cndmask_b32_e64 v3, 0, 1, vcc
	v_add_u32_e32 v11, 0xfffffc10, v4
	v_or_b32_e32 v3, v13, v3
	v_lshl_or_b32 v4, v11, 12, v9
	v_cmp_gt_i32_e32 vcc, 1, v11
	v_cndmask_b32_e32 v3, v4, v3, vcc
	v_and_b32_e32 v4, 7, v3
	v_cmp_lt_i32_e32 vcc, 5, v4
	v_cmp_eq_u32_e64 s[0:1], 3, v4
	v_lshrrev_b32_e32 v3, 2, v3
	s_or_b64 vcc, s[0:1], vcc
	v_addc_co_u32_e32 v13, vcc, 0, v3, vcc
	ds_read2_b32 v[3:4], v98 offset0:128 offset1:224
	v_cmp_gt_i32_e32 vcc, 31, v11
	v_cndmask_b32_e32 v13, v15, v13, vcc
	v_cmp_ne_u32_e32 vcc, 0, v9
	v_cndmask_b32_e64 v9, 0, 1, vcc
	s_waitcnt lgkmcnt(0)
	v_lshrrev_b32_e32 v20, 16, v4
	v_mul_f16_sdwa v14, v87, v20 dst_sel:DWORD dst_unused:UNUSED_PAD src0_sel:WORD_1 src1_sel:DWORD
	v_fma_f16 v14, v87, v4, v14
	v_cvt_f32_f16_e32 v14, v14
	v_lshl_or_b32 v9, v9, 9, v15
	v_cmp_eq_u32_e32 vcc, s10, v11
	v_cndmask_b32_e32 v9, v13, v9, vcc
	v_cvt_f64_f32_e32 v[13:14], v14
	v_lshrrev_b32_e32 v5, 16, v5
	v_and_or_b32 v5, v5, s11, v9
	v_and_b32_e32 v7, 0xffff, v7
	v_mul_f64 v[13:14], v[13:14], s[2:3]
	v_lshl_or_b32 v5, v5, 16, v7
	v_mov_b32_e32 v7, s4
	v_add_co_u32_e32 v18, vcc, s5, v18
	v_addc_co_u32_e32 v19, vcc, v19, v7, vcc
	global_store_dword v[18:19], v5, off
	v_and_or_b32 v5, v14, s6, v13
	v_cmp_ne_u32_e32 vcc, 0, v5
	v_cndmask_b32_e64 v5, 0, 1, vcc
	v_lshrrev_b32_e32 v7, 8, v14
	v_bfe_u32 v9, v14, 20, 11
	v_and_or_b32 v7, v7, s7, v5
	v_sub_u32_e32 v11, 0x3f1, v9
	v_or_b32_e32 v5, 0x1000, v7
	v_med3_i32 v11, v11, 0, 13
	v_lshrrev_b32_e32 v13, v11, v5
	v_lshlrev_b32_e32 v11, v11, v13
	v_mul_f16_sdwa v4, v87, v4 dst_sel:DWORD dst_unused:UNUSED_PAD src0_sel:WORD_1 src1_sel:DWORD
	v_cmp_ne_u32_e32 vcc, v11, v5
	v_fma_f16 v4, v87, v20, -v4
	v_cndmask_b32_e64 v5, 0, 1, vcc
	v_add_u32_e32 v9, 0xfffffc10, v9
	v_cvt_f32_f16_e32 v4, v4
	v_or_b32_e32 v5, v13, v5
	v_lshl_or_b32 v11, v9, 12, v7
	v_cmp_gt_i32_e32 vcc, 1, v9
	v_cndmask_b32_e32 v5, v11, v5, vcc
	v_and_b32_e32 v11, 7, v5
	v_cmp_lt_i32_e32 vcc, 5, v11
	v_cmp_eq_u32_e64 s[0:1], 3, v11
	v_lshrrev_b32_e32 v11, 2, v5
	v_cvt_f64_f32_e32 v[4:5], v4
	s_or_b64 vcc, s[0:1], vcc
	v_addc_co_u32_e32 v11, vcc, 0, v11, vcc
	v_mul_f64 v[4:5], v[4:5], s[2:3]
	v_cmp_gt_i32_e32 vcc, 31, v9
	v_cndmask_b32_e32 v11, v15, v11, vcc
	v_cmp_ne_u32_e32 vcc, 0, v7
	v_cndmask_b32_e64 v7, 0, 1, vcc
	v_lshl_or_b32 v7, v7, 9, v15
	v_cmp_eq_u32_e32 vcc, s10, v9
	v_cndmask_b32_e32 v7, v11, v7, vcc
	v_and_or_b32 v4, v5, s6, v4
	v_lshrrev_b32_e32 v9, 16, v14
	v_cmp_ne_u32_e32 vcc, 0, v4
	v_and_or_b32 v7, v9, s11, v7
	v_cndmask_b32_e64 v4, 0, 1, vcc
	v_lshrrev_b32_e32 v9, 8, v5
	v_bfe_u32 v11, v5, 20, 11
	v_and_or_b32 v4, v9, s7, v4
	v_sub_u32_e32 v13, 0x3f1, v11
	v_or_b32_e32 v9, 0x1000, v4
	v_med3_i32 v13, v13, 0, 13
	v_lshrrev_b32_e32 v14, v13, v9
	v_lshlrev_b32_e32 v13, v13, v14
	v_cmp_ne_u32_e32 vcc, v13, v9
	v_cndmask_b32_e64 v9, 0, 1, vcc
	v_add_u32_e32 v11, 0xfffffc10, v11
	v_or_b32_e32 v9, v14, v9
	v_lshl_or_b32 v13, v11, 12, v4
	v_cmp_gt_i32_e32 vcc, 1, v11
	v_cndmask_b32_e32 v9, v13, v9, vcc
	v_and_b32_e32 v13, 7, v9
	v_cmp_lt_i32_e32 vcc, 5, v13
	v_cmp_eq_u32_e64 s[0:1], 3, v13
	ds_read2_b32 v[13:14], v94 offset1:96
	v_lshrrev_b32_e32 v9, 2, v9
	s_or_b64 vcc, s[0:1], vcc
	v_addc_co_u32_e32 v9, vcc, 0, v9, vcc
	s_waitcnt lgkmcnt(0)
	v_lshrrev_b32_e32 v22, 16, v13
	v_mul_f16_sdwa v20, v85, v22 dst_sel:DWORD dst_unused:UNUSED_PAD src0_sel:WORD_1 src1_sel:DWORD
	v_fma_f16 v20, v85, v13, v20
	v_cvt_f32_f16_e32 v20, v20
	v_cmp_gt_i32_e32 vcc, 31, v11
	v_cndmask_b32_e32 v9, v15, v9, vcc
	v_cmp_ne_u32_e32 vcc, 0, v4
	v_cvt_f64_f32_e32 v[20:21], v20
	v_cndmask_b32_e64 v4, 0, 1, vcc
	v_lshl_or_b32 v4, v4, 9, v15
	v_cmp_eq_u32_e32 vcc, s10, v11
	v_cndmask_b32_e32 v4, v9, v4, vcc
	v_lshrrev_b32_e32 v5, 16, v5
	v_and_or_b32 v9, v5, s11, v4
	v_mul_f64 v[4:5], v[20:21], s[2:3]
	v_and_b32_e32 v7, 0xffff, v7
	v_lshl_or_b32 v7, v9, 16, v7
	v_mov_b32_e32 v9, s4
	v_add_co_u32_e32 v18, vcc, s5, v18
	v_addc_co_u32_e32 v19, vcc, v19, v9, vcc
	v_and_or_b32 v4, v5, s6, v4
	v_cmp_ne_u32_e32 vcc, 0, v4
	global_store_dword v[18:19], v7, off
	v_cndmask_b32_e64 v4, 0, 1, vcc
	v_lshrrev_b32_e32 v7, 8, v5
	v_bfe_u32 v9, v5, 20, 11
	v_and_or_b32 v4, v7, s7, v4
	v_sub_u32_e32 v11, 0x3f1, v9
	v_mul_f16_sdwa v13, v85, v13 dst_sel:DWORD dst_unused:UNUSED_PAD src0_sel:WORD_1 src1_sel:DWORD
	v_or_b32_e32 v7, 0x1000, v4
	v_med3_i32 v11, v11, 0, 13
	v_fma_f16 v13, v85, v22, -v13
	v_lshrrev_b32_e32 v20, v11, v7
	v_cvt_f32_f16_e32 v13, v13
	v_lshlrev_b32_e32 v11, v11, v20
	v_cmp_ne_u32_e32 vcc, v11, v7
	v_cndmask_b32_e64 v7, 0, 1, vcc
	v_or_b32_e32 v7, v20, v7
	v_add_u32_e32 v9, 0xfffffc10, v9
	v_cvt_f64_f32_e32 v[20:21], v13
	v_lshl_or_b32 v11, v9, 12, v4
	v_cmp_gt_i32_e32 vcc, 1, v9
	v_cndmask_b32_e32 v7, v11, v7, vcc
	v_and_b32_e32 v11, 7, v7
	v_cmp_lt_i32_e32 vcc, 5, v11
	v_cmp_eq_u32_e64 s[0:1], 3, v11
	v_mul_f64 v[20:21], v[20:21], s[2:3]
	v_lshrrev_b32_e32 v7, 2, v7
	s_or_b64 vcc, s[0:1], vcc
	v_addc_co_u32_e32 v7, vcc, 0, v7, vcc
	v_cmp_gt_i32_e32 vcc, 31, v9
	v_cndmask_b32_e32 v7, v15, v7, vcc
	v_cmp_ne_u32_e32 vcc, 0, v4
	v_cndmask_b32_e64 v4, 0, 1, vcc
	v_lshl_or_b32 v4, v4, 9, v15
	v_cmp_eq_u32_e32 vcc, s10, v9
	v_cndmask_b32_e32 v4, v7, v4, vcc
	v_lshrrev_b32_e32 v5, 16, v5
	v_and_or_b32 v9, v5, s11, v4
	v_and_or_b32 v4, v21, s6, v20
	v_cmp_ne_u32_e32 vcc, 0, v4
	v_cndmask_b32_e64 v4, 0, 1, vcc
	v_lshrrev_b32_e32 v5, 8, v21
	v_bfe_u32 v7, v21, 20, 11
	v_and_or_b32 v4, v5, s7, v4
	v_sub_u32_e32 v11, 0x3f1, v7
	v_or_b32_e32 v5, 0x1000, v4
	v_med3_i32 v11, v11, 0, 13
	v_lshrrev_b32_e32 v13, v11, v5
	v_lshlrev_b32_e32 v11, v11, v13
	v_cmp_ne_u32_e32 vcc, v11, v5
	v_cndmask_b32_e64 v5, 0, 1, vcc
	v_add_u32_e32 v7, 0xfffffc10, v7
	v_or_b32_e32 v5, v13, v5
	v_lshl_or_b32 v11, v7, 12, v4
	v_cmp_gt_i32_e32 vcc, 1, v7
	v_cndmask_b32_e32 v5, v11, v5, vcc
	v_and_b32_e32 v11, 7, v5
	v_cmp_lt_i32_e32 vcc, 5, v11
	v_cmp_eq_u32_e64 s[0:1], 3, v11
	v_lshrrev_b32_e32 v5, 2, v5
	s_or_b64 vcc, s[0:1], vcc
	v_addc_co_u32_e32 v5, vcc, 0, v5, vcc
	v_cmp_gt_i32_e32 vcc, 31, v7
	v_cndmask_b32_e32 v11, v15, v5, vcc
	v_cmp_ne_u32_e32 vcc, 0, v4
	ds_read2_b32 v[4:5], v95 offset0:64 offset1:160
	v_cndmask_b32_e64 v13, 0, 1, vcc
	v_lshl_or_b32 v13, v13, 9, v15
	v_cmp_eq_u32_e32 vcc, s10, v7
	v_cndmask_b32_e32 v11, v11, v13, vcc
	s_waitcnt lgkmcnt(0)
	v_lshrrev_b32_e32 v13, 16, v5
	v_mul_f16_sdwa v20, v81, v13 dst_sel:DWORD dst_unused:UNUSED_PAD src0_sel:WORD_1 src1_sel:DWORD
	v_mad_u64_u32 v[22:23], s[0:1], s8, v82, 0
	v_fma_f16 v20, v81, v5, v20
	v_cvt_f32_f16_e32 v20, v20
	v_mov_b32_e32 v7, v23
	v_mad_u64_u32 v[23:24], s[0:1], s9, v82, v[7:8]
	v_lshrrev_b32_e32 v7, 16, v21
	v_cvt_f64_f32_e32 v[20:21], v20
	v_lshlrev_b64 v[22:23], 2, v[22:23]
	v_and_or_b32 v7, v7, s11, v11
	v_and_b32_e32 v9, 0xffff, v9
	v_mul_f64 v[20:21], v[20:21], s[2:3]
	v_add_co_u32_e32 v22, vcc, v16, v22
	v_lshl_or_b32 v7, v7, 16, v9
	v_addc_co_u32_e32 v23, vcc, v17, v23, vcc
	global_store_dword v[22:23], v7, off
	v_mul_f16_sdwa v5, v81, v5 dst_sel:DWORD dst_unused:UNUSED_PAD src0_sel:WORD_1 src1_sel:DWORD
	v_and_or_b32 v7, v21, s6, v20
	v_cmp_ne_u32_e32 vcc, 0, v7
	v_cndmask_b32_e64 v7, 0, 1, vcc
	v_lshrrev_b32_e32 v9, 8, v21
	v_bfe_u32 v11, v21, 20, 11
	v_and_or_b32 v7, v9, s7, v7
	v_sub_u32_e32 v20, 0x3f1, v11
	v_or_b32_e32 v9, 0x1000, v7
	v_med3_i32 v20, v20, 0, 13
	v_fma_f16 v5, v81, v13, -v5
	v_lshrrev_b32_e32 v22, v20, v9
	v_cvt_f32_f16_e32 v5, v5
	v_lshlrev_b32_e32 v20, v20, v22
	v_cmp_ne_u32_e32 vcc, v20, v9
	v_cndmask_b32_e64 v9, 0, 1, vcc
	v_or_b32_e32 v9, v22, v9
	v_add_u32_e32 v11, 0xfffffc10, v11
	v_cvt_f64_f32_e32 v[22:23], v5
	v_lshl_or_b32 v20, v11, 12, v7
	v_cmp_gt_i32_e32 vcc, 1, v11
	v_cndmask_b32_e32 v9, v20, v9, vcc
	v_and_b32_e32 v20, 7, v9
	v_cmp_lt_i32_e32 vcc, 5, v20
	v_cmp_eq_u32_e64 s[0:1], 3, v20
	v_mul_f64 v[22:23], v[22:23], s[2:3]
	v_lshrrev_b32_e32 v9, 2, v9
	s_or_b64 vcc, s[0:1], vcc
	v_addc_co_u32_e32 v5, vcc, 0, v9, vcc
	v_cmp_gt_i32_e32 vcc, 31, v11
	v_cndmask_b32_e32 v5, v15, v5, vcc
	v_cmp_ne_u32_e32 vcc, 0, v7
	v_cndmask_b32_e64 v7, 0, 1, vcc
	v_lshl_or_b32 v7, v7, 9, v15
	v_cmp_eq_u32_e32 vcc, s10, v11
	v_cndmask_b32_e32 v5, v5, v7, vcc
	v_lshrrev_b32_e32 v7, 16, v21
	v_and_or_b32 v5, v7, s11, v5
	v_and_or_b32 v7, v23, s6, v22
	v_cmp_ne_u32_e32 vcc, 0, v7
	v_cndmask_b32_e64 v7, 0, 1, vcc
	v_lshrrev_b32_e32 v9, 8, v23
	v_bfe_u32 v11, v23, 20, 11
	v_and_or_b32 v7, v9, s7, v7
	v_sub_u32_e32 v13, 0x3f1, v11
	v_or_b32_e32 v9, 0x1000, v7
	v_med3_i32 v13, v13, 0, 13
	v_lshrrev_b32_e32 v20, v13, v9
	v_lshlrev_b32_e32 v13, v13, v20
	v_cmp_ne_u32_e32 vcc, v13, v9
	v_cndmask_b32_e64 v9, 0, 1, vcc
	v_add_u32_e32 v11, 0xfffffc10, v11
	v_or_b32_e32 v9, v20, v9
	v_lshl_or_b32 v13, v11, 12, v7
	v_cmp_gt_i32_e32 vcc, 1, v11
	v_cndmask_b32_e32 v9, v13, v9, vcc
	v_and_b32_e32 v13, 7, v9
	v_cmp_lt_i32_e32 vcc, 5, v13
	v_cmp_eq_u32_e64 s[0:1], 3, v13
	v_lshrrev_b32_e32 v13, 16, v6
	v_mul_f16_sdwa v20, v76, v13 dst_sel:DWORD dst_unused:UNUSED_PAD src0_sel:WORD_1 src1_sel:DWORD
	v_fma_f16 v20, v76, v6, v20
	v_cvt_f32_f16_e32 v20, v20
	v_lshrrev_b32_e32 v9, 2, v9
	s_or_b64 vcc, s[0:1], vcc
	v_addc_co_u32_e32 v9, vcc, 0, v9, vcc
	v_cvt_f64_f32_e32 v[20:21], v20
	v_cmp_gt_i32_e32 vcc, 31, v11
	v_cndmask_b32_e32 v9, v15, v9, vcc
	v_cmp_ne_u32_e32 vcc, 0, v7
	v_mul_f64 v[20:21], v[20:21], s[2:3]
	v_cndmask_b32_e64 v7, 0, 1, vcc
	v_lshl_or_b32 v7, v7, 9, v15
	v_cmp_eq_u32_e32 vcc, s10, v11
	v_cndmask_b32_e32 v7, v9, v7, vcc
	v_lshrrev_b32_e32 v9, 16, v23
	v_and_or_b32 v7, v9, s11, v7
	v_and_b32_e32 v5, 0xffff, v5
	v_lshl_or_b32 v5, v7, 16, v5
	v_mov_b32_e32 v7, s12
	v_add_co_u32_e32 v18, vcc, s13, v18
	v_addc_co_u32_e32 v19, vcc, v19, v7, vcc
	global_store_dword v[18:19], v5, off
	v_and_or_b32 v5, v21, s6, v20
	v_cmp_ne_u32_e32 vcc, 0, v5
	v_cndmask_b32_e64 v5, 0, 1, vcc
	v_lshrrev_b32_e32 v7, 8, v21
	v_and_or_b32 v9, v7, s7, v5
	v_bfe_u32 v7, v21, 20, 11
	v_sub_u32_e32 v11, 0x3f1, v7
	v_or_b32_e32 v5, 0x1000, v9
	v_med3_i32 v11, v11, 0, 13
	v_lshrrev_b32_e32 v20, v11, v5
	v_lshlrev_b32_e32 v11, v11, v20
	v_mul_f16_sdwa v6, v76, v6 dst_sel:DWORD dst_unused:UNUSED_PAD src0_sel:WORD_1 src1_sel:DWORD
	v_cmp_ne_u32_e32 vcc, v11, v5
	v_fma_f16 v6, v76, v13, -v6
	v_cndmask_b32_e64 v5, 0, 1, vcc
	v_add_u32_e32 v11, 0xfffffc10, v7
	v_cvt_f32_f16_e32 v6, v6
	v_or_b32_e32 v5, v20, v5
	v_lshl_or_b32 v7, v11, 12, v9
	v_cmp_gt_i32_e32 vcc, 1, v11
	v_cndmask_b32_e32 v5, v7, v5, vcc
	v_and_b32_e32 v7, 7, v5
	v_cmp_lt_i32_e32 vcc, 5, v7
	v_cmp_eq_u32_e64 s[0:1], 3, v7
	v_lshrrev_b32_e32 v7, 2, v5
	v_cvt_f64_f32_e32 v[5:6], v6
	s_or_b64 vcc, s[0:1], vcc
	v_addc_co_u32_e32 v7, vcc, 0, v7, vcc
	v_cmp_gt_i32_e32 vcc, 31, v11
	v_cndmask_b32_e32 v13, v15, v7, vcc
	v_mul_f64 v[6:7], v[5:6], s[2:3]
	v_cmp_ne_u32_e32 vcc, 0, v9
	v_cndmask_b32_e64 v5, 0, 1, vcc
	v_lshl_or_b32 v5, v5, 9, v15
	v_cmp_eq_u32_e32 vcc, s10, v11
	v_cndmask_b32_e32 v5, v13, v5, vcc
	v_lshrrev_b32_e32 v9, 16, v21
	v_and_or_b32 v9, v9, s11, v5
	v_and_or_b32 v5, v7, s6, v6
	v_cmp_ne_u32_e32 vcc, 0, v5
	v_cndmask_b32_e64 v5, 0, 1, vcc
	v_lshrrev_b32_e32 v6, 8, v7
	v_and_or_b32 v11, v6, s7, v5
	v_bfe_u32 v6, v7, 20, 11
	v_sub_u32_e32 v13, 0x3f1, v6
	v_or_b32_e32 v5, 0x1000, v11
	v_med3_i32 v13, v13, 0, 13
	v_lshrrev_b32_e32 v20, v13, v5
	v_lshlrev_b32_e32 v13, v13, v20
	v_cmp_ne_u32_e32 vcc, v13, v5
	v_cndmask_b32_e64 v5, 0, 1, vcc
	v_add_u32_e32 v13, 0xfffffc10, v6
	v_or_b32_e32 v5, v20, v5
	v_lshl_or_b32 v6, v13, 12, v11
	v_cmp_gt_i32_e32 vcc, 1, v13
	v_cndmask_b32_e32 v5, v6, v5, vcc
	v_and_b32_e32 v6, 7, v5
	v_cmp_lt_i32_e32 vcc, 5, v6
	v_cmp_eq_u32_e64 s[0:1], 3, v6
	v_lshrrev_b32_e32 v5, 2, v5
	s_or_b64 vcc, s[0:1], vcc
	v_addc_co_u32_e32 v20, vcc, 0, v5, vcc
	ds_read2_b32 v[5:6], v86 offset0:128 offset1:224
	v_cmp_gt_i32_e32 vcc, 31, v13
	v_cndmask_b32_e32 v20, v15, v20, vcc
	v_cmp_ne_u32_e32 vcc, 0, v11
	v_cndmask_b32_e64 v11, 0, 1, vcc
	s_waitcnt lgkmcnt(0)
	v_lshrrev_b32_e32 v22, 16, v5
	v_mul_f16_sdwa v21, v75, v22 dst_sel:DWORD dst_unused:UNUSED_PAD src0_sel:WORD_1 src1_sel:DWORD
	v_fma_f16 v21, v75, v5, v21
	v_cvt_f32_f16_e32 v21, v21
	v_lshl_or_b32 v11, v11, 9, v15
	v_cmp_eq_u32_e32 vcc, s10, v13
	v_cndmask_b32_e32 v11, v20, v11, vcc
	v_cvt_f64_f32_e32 v[20:21], v21
	v_mad_u64_u32 v[18:19], s[0:1], s8, v79, v[18:19]
	v_lshrrev_b32_e32 v7, 16, v7
	v_mul_f64 v[20:21], v[20:21], s[2:3]
	s_mul_i32 s0, s9, 0xffffd900
	v_and_or_b32 v7, v7, s11, v11
	v_and_b32_e32 v9, 0xffff, v9
	s_sub_i32 s0, s0, s8
	v_lshl_or_b32 v7, v7, 16, v9
	v_add_u32_e32 v19, s0, v19
	global_store_dword v[18:19], v7, off
	v_and_or_b32 v7, v21, s6, v20
	v_cmp_ne_u32_e32 vcc, 0, v7
	v_cndmask_b32_e64 v7, 0, 1, vcc
	v_lshrrev_b32_e32 v9, 8, v21
	v_bfe_u32 v11, v21, 20, 11
	v_mul_f16_sdwa v5, v75, v5 dst_sel:DWORD dst_unused:UNUSED_PAD src0_sel:WORD_1 src1_sel:DWORD
	v_and_or_b32 v7, v9, s7, v7
	v_sub_u32_e32 v13, 0x3f1, v11
	v_fma_f16 v5, v75, v22, -v5
	v_or_b32_e32 v9, 0x1000, v7
	v_med3_i32 v13, v13, 0, 13
	v_cvt_f32_f16_e32 v5, v5
	v_lshrrev_b32_e32 v20, v13, v9
	v_lshlrev_b32_e32 v13, v13, v20
	v_cmp_ne_u32_e32 vcc, v13, v9
	v_cndmask_b32_e64 v9, 0, 1, vcc
	v_add_u32_e32 v11, 0xfffffc10, v11
	v_cvt_f64_f32_e32 v[22:23], v5
	v_or_b32_e32 v9, v20, v9
	v_lshl_or_b32 v13, v11, 12, v7
	v_cmp_gt_i32_e32 vcc, 1, v11
	v_cndmask_b32_e32 v9, v13, v9, vcc
	v_and_b32_e32 v13, 7, v9
	v_cmp_lt_i32_e32 vcc, 5, v13
	v_cmp_eq_u32_e64 s[0:1], 3, v13
	v_mul_f64 v[22:23], v[22:23], s[2:3]
	v_lshrrev_b32_e32 v9, 2, v9
	s_or_b64 vcc, s[0:1], vcc
	v_addc_co_u32_e32 v5, vcc, 0, v9, vcc
	v_cmp_gt_i32_e32 vcc, 31, v11
	v_cndmask_b32_e32 v5, v15, v5, vcc
	v_cmp_ne_u32_e32 vcc, 0, v7
	v_cndmask_b32_e64 v7, 0, 1, vcc
	v_lshl_or_b32 v7, v7, 9, v15
	v_cmp_eq_u32_e32 vcc, s10, v11
	v_cndmask_b32_e32 v5, v5, v7, vcc
	v_lshrrev_b32_e32 v7, 16, v21
	v_and_or_b32 v7, v7, s11, v5
	v_and_or_b32 v5, v23, s6, v22
	v_cmp_ne_u32_e32 vcc, 0, v5
	v_cndmask_b32_e64 v5, 0, 1, vcc
	v_lshrrev_b32_e32 v9, 8, v23
	v_bfe_u32 v11, v23, 20, 11
	v_and_or_b32 v5, v9, s7, v5
	v_sub_u32_e32 v13, 0x3f1, v11
	v_or_b32_e32 v9, 0x1000, v5
	v_med3_i32 v13, v13, 0, 13
	v_lshrrev_b32_e32 v20, v13, v9
	v_lshlrev_b32_e32 v13, v13, v20
	v_cmp_ne_u32_e32 vcc, v13, v9
	v_cndmask_b32_e64 v9, 0, 1, vcc
	v_add_u32_e32 v11, 0xfffffc10, v11
	v_or_b32_e32 v9, v20, v9
	v_lshl_or_b32 v13, v11, 12, v5
	v_cmp_gt_i32_e32 vcc, 1, v11
	v_cndmask_b32_e32 v9, v13, v9, vcc
	v_and_b32_e32 v13, 7, v9
	v_cmp_lt_i32_e32 vcc, 5, v13
	v_cmp_eq_u32_e64 s[0:1], 3, v13
	v_lshrrev_b32_e32 v9, 2, v9
	s_or_b64 vcc, s[0:1], vcc
	v_addc_co_u32_e32 v9, vcc, 0, v9, vcc
	v_cmp_gt_i32_e32 vcc, 31, v11
	v_cndmask_b32_e32 v9, v15, v9, vcc
	v_cmp_ne_u32_e32 vcc, 0, v5
	v_cndmask_b32_e64 v5, 0, 1, vcc
	v_cmp_eq_u32_e32 vcc, s10, v11
	v_lshrrev_b32_e32 v11, 16, v8
	v_mad_u64_u32 v[20:21], s[0:1], s8, v78, 0
	v_mul_f16_sdwa v13, v72, v11 dst_sel:DWORD dst_unused:UNUSED_PAD src0_sel:WORD_1 src1_sel:DWORD
	v_fma_f16 v13, v72, v8, v13
	v_cvt_f32_f16_e32 v13, v13
	v_lshl_or_b32 v5, v5, 9, v15
	v_cndmask_b32_e32 v9, v9, v5, vcc
	v_mov_b32_e32 v5, v21
	v_mad_u64_u32 v[21:22], s[0:1], s9, v78, v[5:6]
	v_lshrrev_b32_e32 v5, 16, v23
	v_cvt_f64_f32_e32 v[22:23], v13
	v_lshlrev_b64 v[20:21], 2, v[20:21]
	v_and_or_b32 v5, v5, s11, v9
	v_and_b32_e32 v7, 0xffff, v7
	v_mul_f64 v[22:23], v[22:23], s[2:3]
	v_add_co_u32_e32 v20, vcc, v16, v20
	v_lshl_or_b32 v5, v5, 16, v7
	v_addc_co_u32_e32 v21, vcc, v17, v21, vcc
	global_store_dword v[20:21], v5, off
	v_mul_f16_sdwa v8, v72, v8 dst_sel:DWORD dst_unused:UNUSED_PAD src0_sel:WORD_1 src1_sel:DWORD
	v_and_or_b32 v5, v23, s6, v22
	v_cmp_ne_u32_e32 vcc, 0, v5
	v_cndmask_b32_e64 v5, 0, 1, vcc
	v_lshrrev_b32_e32 v7, 8, v23
	v_bfe_u32 v9, v23, 20, 11
	v_and_or_b32 v5, v7, s7, v5
	v_sub_u32_e32 v13, 0x3f1, v9
	v_or_b32_e32 v7, 0x1000, v5
	v_med3_i32 v13, v13, 0, 13
	v_lshrrev_b32_e32 v20, v13, v7
	v_lshlrev_b32_e32 v13, v13, v20
	v_cmp_ne_u32_e32 vcc, v13, v7
	v_fma_f16 v8, v72, v11, -v8
	v_cndmask_b32_e64 v7, 0, 1, vcc
	v_add_u32_e32 v13, 0xfffffc10, v9
	v_cvt_f32_f16_e32 v8, v8
	v_or_b32_e32 v7, v20, v7
	v_lshl_or_b32 v9, v13, 12, v5
	v_cmp_gt_i32_e32 vcc, 1, v13
	v_cndmask_b32_e32 v7, v9, v7, vcc
	v_and_b32_e32 v9, 7, v7
	v_cmp_lt_i32_e32 vcc, 5, v9
	v_cmp_eq_u32_e64 s[0:1], 3, v9
	v_lshrrev_b32_e32 v9, 2, v7
	v_cvt_f64_f32_e32 v[7:8], v8
	s_or_b64 vcc, s[0:1], vcc
	v_addc_co_u32_e32 v9, vcc, 0, v9, vcc
	v_cmp_gt_i32_e32 vcc, 31, v13
	v_cndmask_b32_e32 v11, v15, v9, vcc
	v_mul_f64 v[8:9], v[7:8], s[2:3]
	v_cmp_ne_u32_e32 vcc, 0, v5
	v_cndmask_b32_e64 v5, 0, 1, vcc
	v_lshl_or_b32 v5, v5, 9, v15
	v_cmp_eq_u32_e32 vcc, s10, v13
	v_cndmask_b32_e32 v5, v11, v5, vcc
	v_lshrrev_b32_e32 v7, 16, v23
	v_and_or_b32 v5, v7, s11, v5
	v_and_or_b32 v7, v9, s6, v8
	v_cmp_ne_u32_e32 vcc, 0, v7
	v_cndmask_b32_e64 v7, 0, 1, vcc
	v_lshrrev_b32_e32 v8, 8, v9
	v_and_or_b32 v11, v8, s7, v7
	v_bfe_u32 v8, v9, 20, 11
	v_sub_u32_e32 v13, 0x3f1, v8
	v_or_b32_e32 v7, 0x1000, v11
	v_med3_i32 v13, v13, 0, 13
	v_lshrrev_b32_e32 v20, v13, v7
	v_lshlrev_b32_e32 v13, v13, v20
	v_cmp_ne_u32_e32 vcc, v13, v7
	v_cndmask_b32_e64 v7, 0, 1, vcc
	v_add_u32_e32 v13, 0xfffffc10, v8
	v_or_b32_e32 v7, v20, v7
	v_lshl_or_b32 v8, v13, 12, v11
	v_cmp_gt_i32_e32 vcc, 1, v13
	v_cndmask_b32_e32 v7, v8, v7, vcc
	v_and_b32_e32 v8, 7, v7
	v_cmp_lt_i32_e32 vcc, 5, v8
	v_cmp_eq_u32_e64 s[0:1], 3, v8
	v_lshrrev_b32_e32 v7, 2, v7
	s_or_b64 vcc, s[0:1], vcc
	v_addc_co_u32_e32 v20, vcc, 0, v7, vcc
	ds_read2_b32 v[7:8], v80 offset0:64 offset1:160
	v_cmp_gt_i32_e32 vcc, 31, v13
	v_cndmask_b32_e32 v20, v15, v20, vcc
	v_cmp_ne_u32_e32 vcc, 0, v11
	v_cndmask_b32_e64 v11, 0, 1, vcc
	s_waitcnt lgkmcnt(0)
	v_lshrrev_b32_e32 v22, 16, v7
	v_mul_f16_sdwa v21, v73, v22 dst_sel:DWORD dst_unused:UNUSED_PAD src0_sel:WORD_1 src1_sel:DWORD
	v_fma_f16 v21, v73, v7, v21
	v_cvt_f32_f16_e32 v21, v21
	v_lshl_or_b32 v11, v11, 9, v15
	v_cmp_eq_u32_e32 vcc, s10, v13
	v_cndmask_b32_e32 v11, v20, v11, vcc
	v_cvt_f64_f32_e32 v[20:21], v21
	v_lshrrev_b32_e32 v9, 16, v9
	v_and_or_b32 v9, v9, s11, v11
	v_and_b32_e32 v5, 0xffff, v5
	v_mul_f64 v[20:21], v[20:21], s[2:3]
	v_lshl_or_b32 v5, v9, 16, v5
	v_mov_b32_e32 v9, s12
	v_add_co_u32_e32 v18, vcc, s13, v18
	v_addc_co_u32_e32 v19, vcc, v19, v9, vcc
	global_store_dword v[18:19], v5, off
	v_and_or_b32 v5, v21, s6, v20
	v_cmp_ne_u32_e32 vcc, 0, v5
	v_cndmask_b32_e64 v5, 0, 1, vcc
	v_lshrrev_b32_e32 v9, 8, v21
	v_bfe_u32 v11, v21, 20, 11
	v_mul_f16_sdwa v7, v73, v7 dst_sel:DWORD dst_unused:UNUSED_PAD src0_sel:WORD_1 src1_sel:DWORD
	v_and_or_b32 v5, v9, s7, v5
	v_sub_u32_e32 v13, 0x3f1, v11
	v_fma_f16 v7, v73, v22, -v7
	v_or_b32_e32 v9, 0x1000, v5
	v_med3_i32 v13, v13, 0, 13
	v_cvt_f32_f16_e32 v7, v7
	v_lshrrev_b32_e32 v20, v13, v9
	v_lshlrev_b32_e32 v13, v13, v20
	v_cmp_ne_u32_e32 vcc, v13, v9
	v_cndmask_b32_e64 v9, 0, 1, vcc
	v_add_u32_e32 v11, 0xfffffc10, v11
	v_cvt_f64_f32_e32 v[22:23], v7
	v_or_b32_e32 v9, v20, v9
	v_lshl_or_b32 v13, v11, 12, v5
	v_cmp_gt_i32_e32 vcc, 1, v11
	v_cndmask_b32_e32 v9, v13, v9, vcc
	v_and_b32_e32 v13, 7, v9
	v_cmp_lt_i32_e32 vcc, 5, v13
	v_cmp_eq_u32_e64 s[0:1], 3, v13
	v_mul_f64 v[22:23], v[22:23], s[2:3]
	v_lshrrev_b32_e32 v9, 2, v9
	s_or_b64 vcc, s[0:1], vcc
	v_addc_co_u32_e32 v7, vcc, 0, v9, vcc
	v_cmp_gt_i32_e32 vcc, 31, v11
	v_cndmask_b32_e32 v7, v15, v7, vcc
	v_cmp_ne_u32_e32 vcc, 0, v5
	v_cndmask_b32_e64 v5, 0, 1, vcc
	v_lshl_or_b32 v5, v5, 9, v15
	v_cmp_eq_u32_e32 vcc, s10, v11
	v_cndmask_b32_e32 v5, v7, v5, vcc
	v_lshrrev_b32_e32 v7, 16, v21
	v_and_or_b32 v5, v7, s11, v5
	v_and_or_b32 v7, v23, s6, v22
	v_cmp_ne_u32_e32 vcc, 0, v7
	v_cndmask_b32_e64 v7, 0, 1, vcc
	v_lshrrev_b32_e32 v9, 8, v23
	v_bfe_u32 v11, v23, 20, 11
	v_and_or_b32 v7, v9, s7, v7
	v_sub_u32_e32 v13, 0x3f1, v11
	v_or_b32_e32 v9, 0x1000, v7
	v_med3_i32 v13, v13, 0, 13
	v_lshrrev_b32_e32 v20, v13, v9
	v_lshlrev_b32_e32 v13, v13, v20
	v_cmp_ne_u32_e32 vcc, v13, v9
	v_cndmask_b32_e64 v9, 0, 1, vcc
	v_add_u32_e32 v11, 0xfffffc10, v11
	v_or_b32_e32 v9, v20, v9
	v_lshl_or_b32 v13, v11, 12, v7
	v_cmp_gt_i32_e32 vcc, 1, v11
	v_cndmask_b32_e32 v9, v13, v9, vcc
	v_and_b32_e32 v13, 7, v9
	v_cmp_lt_i32_e32 vcc, 5, v13
	v_cmp_eq_u32_e64 s[0:1], 3, v13
	v_lshrrev_b32_e32 v13, 16, v10
	v_mul_f16_sdwa v20, v70, v13 dst_sel:DWORD dst_unused:UNUSED_PAD src0_sel:WORD_1 src1_sel:DWORD
	v_fma_f16 v20, v70, v10, v20
	v_cvt_f32_f16_e32 v20, v20
	v_lshrrev_b32_e32 v9, 2, v9
	s_or_b64 vcc, s[0:1], vcc
	v_addc_co_u32_e32 v9, vcc, 0, v9, vcc
	v_cvt_f64_f32_e32 v[20:21], v20
	v_cmp_gt_i32_e32 vcc, 31, v11
	v_cndmask_b32_e32 v9, v15, v9, vcc
	v_cmp_ne_u32_e32 vcc, 0, v7
	v_mul_f64 v[20:21], v[20:21], s[2:3]
	v_cndmask_b32_e64 v7, 0, 1, vcc
	v_lshl_or_b32 v7, v7, 9, v15
	v_cmp_eq_u32_e32 vcc, s10, v11
	v_cndmask_b32_e32 v7, v9, v7, vcc
	v_lshrrev_b32_e32 v9, 16, v23
	v_and_or_b32 v7, v9, s11, v7
	v_and_b32_e32 v5, 0xffff, v5
	v_lshl_or_b32 v5, v7, 16, v5
	v_mov_b32_e32 v7, s4
	v_add_co_u32_e32 v18, vcc, s5, v18
	v_addc_co_u32_e32 v19, vcc, v19, v7, vcc
	global_store_dword v[18:19], v5, off
	v_and_or_b32 v5, v21, s6, v20
	v_cmp_ne_u32_e32 vcc, 0, v5
	v_cndmask_b32_e64 v5, 0, 1, vcc
	v_lshrrev_b32_e32 v7, 8, v21
	v_bfe_u32 v9, v21, 20, 11
	v_and_or_b32 v5, v7, s7, v5
	v_sub_u32_e32 v11, 0x3f1, v9
	v_or_b32_e32 v7, 0x1000, v5
	v_med3_i32 v11, v11, 0, 13
	v_lshrrev_b32_e32 v20, v11, v7
	v_lshlrev_b32_e32 v11, v11, v20
	v_cmp_ne_u32_e32 vcc, v11, v7
	v_mul_f16_sdwa v10, v70, v10 dst_sel:DWORD dst_unused:UNUSED_PAD src0_sel:WORD_1 src1_sel:DWORD
	v_cndmask_b32_e64 v7, 0, 1, vcc
	v_fma_f16 v10, v70, v13, -v10
	v_or_b32_e32 v7, v20, v7
	v_add_u32_e32 v20, 0xfffffc10, v9
	v_cvt_f32_f16_e32 v10, v10
	v_lshl_or_b32 v9, v20, 12, v5
	v_cmp_gt_i32_e32 vcc, 1, v20
	v_cndmask_b32_e32 v7, v9, v7, vcc
	v_and_b32_e32 v9, 7, v7
	v_cmp_lt_i32_e32 vcc, 5, v9
	v_cmp_eq_u32_e64 s[0:1], 3, v9
	v_cvt_f64_f32_e32 v[9:10], v10
	v_lshrrev_b32_e32 v7, 2, v7
	s_or_b64 vcc, s[0:1], vcc
	v_addc_co_u32_e32 v7, vcc, 0, v7, vcc
	v_mul_f64 v[10:11], v[9:10], s[2:3]
	v_cmp_gt_i32_e32 vcc, 31, v20
	v_cndmask_b32_e32 v7, v15, v7, vcc
	v_cmp_ne_u32_e32 vcc, 0, v5
	v_cndmask_b32_e64 v5, 0, 1, vcc
	v_lshl_or_b32 v5, v5, 9, v15
	v_cmp_eq_u32_e32 vcc, s10, v20
	v_cndmask_b32_e32 v5, v7, v5, vcc
	v_lshrrev_b32_e32 v7, 16, v21
	v_and_or_b32 v5, v7, s11, v5
	v_and_or_b32 v7, v11, s6, v10
	v_cmp_ne_u32_e32 vcc, 0, v7
	v_cndmask_b32_e64 v7, 0, 1, vcc
	v_lshrrev_b32_e32 v9, 8, v11
	v_bfe_u32 v10, v11, 20, 11
	v_and_or_b32 v7, v9, s7, v7
	v_sub_u32_e32 v13, 0x3f1, v10
	v_or_b32_e32 v9, 0x1000, v7
	v_med3_i32 v13, v13, 0, 13
	v_lshrrev_b32_e32 v20, v13, v9
	v_lshlrev_b32_e32 v13, v13, v20
	v_cmp_ne_u32_e32 vcc, v13, v9
	v_cndmask_b32_e64 v9, 0, 1, vcc
	v_add_u32_e32 v13, 0xfffffc10, v10
	v_or_b32_e32 v9, v20, v9
	v_lshl_or_b32 v10, v13, 12, v7
	v_cmp_gt_i32_e32 vcc, 1, v13
	v_cndmask_b32_e32 v9, v10, v9, vcc
	v_and_b32_e32 v10, 7, v9
	v_cmp_lt_i32_e32 vcc, 5, v10
	v_cmp_eq_u32_e64 s[0:1], 3, v10
	v_lshrrev_b32_e32 v9, 2, v9
	s_or_b64 vcc, s[0:1], vcc
	v_addc_co_u32_e32 v20, vcc, 0, v9, vcc
	ds_read2_b32 v[9:10], v77 offset1:96
	v_cmp_gt_i32_e32 vcc, 31, v13
	v_cndmask_b32_e32 v20, v15, v20, vcc
	v_cmp_ne_u32_e32 vcc, 0, v7
	v_cndmask_b32_e64 v7, 0, 1, vcc
	s_waitcnt lgkmcnt(0)
	v_lshrrev_b32_e32 v22, 16, v9
	v_mul_f16_sdwa v21, v71, v22 dst_sel:DWORD dst_unused:UNUSED_PAD src0_sel:WORD_1 src1_sel:DWORD
	v_fma_f16 v21, v71, v9, v21
	v_cvt_f32_f16_e32 v21, v21
	v_lshl_or_b32 v7, v7, 9, v15
	v_cmp_eq_u32_e32 vcc, s10, v13
	v_cndmask_b32_e32 v7, v20, v7, vcc
	v_cvt_f64_f32_e32 v[20:21], v21
	v_lshrrev_b32_e32 v11, 16, v11
	v_and_or_b32 v7, v11, s11, v7
	v_and_b32_e32 v5, 0xffff, v5
	v_mul_f64 v[20:21], v[20:21], s[2:3]
	v_lshl_or_b32 v5, v7, 16, v5
	v_mov_b32_e32 v7, s4
	v_add_co_u32_e32 v18, vcc, s5, v18
	v_addc_co_u32_e32 v19, vcc, v19, v7, vcc
	global_store_dword v[18:19], v5, off
	v_and_or_b32 v5, v21, s6, v20
	v_cmp_ne_u32_e32 vcc, 0, v5
	v_cndmask_b32_e64 v5, 0, 1, vcc
	v_lshrrev_b32_e32 v7, 8, v21
	v_bfe_u32 v11, v21, 20, 11
	v_mul_f16_sdwa v9, v71, v9 dst_sel:DWORD dst_unused:UNUSED_PAD src0_sel:WORD_1 src1_sel:DWORD
	v_and_or_b32 v5, v7, s7, v5
	v_sub_u32_e32 v13, 0x3f1, v11
	v_fma_f16 v9, v71, v22, -v9
	v_or_b32_e32 v7, 0x1000, v5
	v_med3_i32 v13, v13, 0, 13
	v_cvt_f32_f16_e32 v9, v9
	v_lshrrev_b32_e32 v20, v13, v7
	v_lshlrev_b32_e32 v13, v13, v20
	v_cmp_ne_u32_e32 vcc, v13, v7
	v_cndmask_b32_e64 v7, 0, 1, vcc
	v_add_u32_e32 v11, 0xfffffc10, v11
	v_cvt_f64_f32_e32 v[22:23], v9
	v_or_b32_e32 v7, v20, v7
	v_lshl_or_b32 v13, v11, 12, v5
	v_cmp_gt_i32_e32 vcc, 1, v11
	v_cndmask_b32_e32 v7, v13, v7, vcc
	v_and_b32_e32 v13, 7, v7
	v_cmp_lt_i32_e32 vcc, 5, v13
	v_cmp_eq_u32_e64 s[0:1], 3, v13
	v_mul_f64 v[22:23], v[22:23], s[2:3]
	v_lshrrev_b32_e32 v7, 2, v7
	s_or_b64 vcc, s[0:1], vcc
	v_addc_co_u32_e32 v7, vcc, 0, v7, vcc
	v_cmp_gt_i32_e32 vcc, 31, v11
	v_cndmask_b32_e32 v7, v15, v7, vcc
	v_cmp_ne_u32_e32 vcc, 0, v5
	v_cndmask_b32_e64 v5, 0, 1, vcc
	v_lshl_or_b32 v5, v5, 9, v15
	v_cmp_eq_u32_e32 vcc, s10, v11
	v_cndmask_b32_e32 v5, v7, v5, vcc
	v_lshrrev_b32_e32 v7, 16, v21
	v_and_or_b32 v7, v7, s11, v5
	v_and_or_b32 v5, v23, s6, v22
	v_cmp_ne_u32_e32 vcc, 0, v5
	v_cndmask_b32_e64 v5, 0, 1, vcc
	v_lshrrev_b32_e32 v9, 8, v23
	v_bfe_u32 v11, v23, 20, 11
	v_and_or_b32 v5, v9, s7, v5
	v_sub_u32_e32 v13, 0x3f1, v11
	v_or_b32_e32 v9, 0x1000, v5
	v_med3_i32 v13, v13, 0, 13
	v_lshrrev_b32_e32 v20, v13, v9
	v_lshlrev_b32_e32 v13, v13, v20
	v_cmp_ne_u32_e32 vcc, v13, v9
	v_cndmask_b32_e64 v9, 0, 1, vcc
	v_add_u32_e32 v11, 0xfffffc10, v11
	v_or_b32_e32 v9, v20, v9
	v_lshl_or_b32 v13, v11, 12, v5
	v_cmp_gt_i32_e32 vcc, 1, v11
	v_cndmask_b32_e32 v9, v13, v9, vcc
	v_and_b32_e32 v13, 7, v9
	v_cmp_lt_i32_e32 vcc, 5, v13
	v_cmp_eq_u32_e64 s[0:1], 3, v13
	v_lshrrev_b32_e32 v9, 2, v9
	s_or_b64 vcc, s[0:1], vcc
	v_addc_co_u32_e32 v9, vcc, 0, v9, vcc
	v_cmp_gt_i32_e32 vcc, 31, v11
	v_cndmask_b32_e32 v9, v15, v9, vcc
	v_cmp_ne_u32_e32 vcc, 0, v5
	v_cndmask_b32_e64 v5, 0, 1, vcc
	v_cmp_eq_u32_e32 vcc, s10, v11
	v_lshrrev_b32_e32 v11, 16, v12
	v_mad_u64_u32 v[20:21], s[0:1], s8, v68, 0
	v_mul_f16_sdwa v13, v65, v11 dst_sel:DWORD dst_unused:UNUSED_PAD src0_sel:WORD_1 src1_sel:DWORD
	v_fma_f16 v13, v65, v12, v13
	v_cvt_f32_f16_e32 v13, v13
	v_lshl_or_b32 v5, v5, 9, v15
	v_cndmask_b32_e32 v9, v9, v5, vcc
	v_mov_b32_e32 v5, v21
	v_mad_u64_u32 v[21:22], s[0:1], s9, v68, v[5:6]
	v_lshrrev_b32_e32 v5, 16, v23
	v_cvt_f64_f32_e32 v[22:23], v13
	v_lshlrev_b64 v[20:21], 2, v[20:21]
	v_and_or_b32 v5, v5, s11, v9
	v_and_b32_e32 v7, 0xffff, v7
	v_mul_f64 v[22:23], v[22:23], s[2:3]
	v_add_co_u32_e32 v20, vcc, v16, v20
	v_lshl_or_b32 v5, v5, 16, v7
	v_addc_co_u32_e32 v21, vcc, v17, v21, vcc
	global_store_dword v[20:21], v5, off
	v_mul_f16_sdwa v12, v65, v12 dst_sel:DWORD dst_unused:UNUSED_PAD src0_sel:WORD_1 src1_sel:DWORD
	v_and_or_b32 v5, v23, s6, v22
	v_cmp_ne_u32_e32 vcc, 0, v5
	v_cndmask_b32_e64 v5, 0, 1, vcc
	v_lshrrev_b32_e32 v7, 8, v23
	v_bfe_u32 v9, v23, 20, 11
	v_and_or_b32 v5, v7, s7, v5
	v_sub_u32_e32 v13, 0x3f1, v9
	v_fma_f16 v11, v65, v11, -v12
	v_or_b32_e32 v7, 0x1000, v5
	v_med3_i32 v13, v13, 0, 13
	v_cvt_f32_f16_e32 v11, v11
	v_lshrrev_b32_e32 v20, v13, v7
	v_lshlrev_b32_e32 v13, v13, v20
	v_cmp_ne_u32_e32 vcc, v13, v7
	v_cndmask_b32_e64 v7, 0, 1, vcc
	v_add_u32_e32 v9, 0xfffffc10, v9
	v_cvt_f64_f32_e32 v[11:12], v11
	v_or_b32_e32 v7, v20, v7
	v_lshl_or_b32 v13, v9, 12, v5
	v_cmp_gt_i32_e32 vcc, 1, v9
	v_cndmask_b32_e32 v7, v13, v7, vcc
	v_and_b32_e32 v13, 7, v7
	v_cmp_lt_i32_e32 vcc, 5, v13
	v_cmp_eq_u32_e64 s[0:1], 3, v13
	v_mul_f64 v[12:13], v[11:12], s[2:3]
	v_lshrrev_b32_e32 v7, 2, v7
	s_or_b64 vcc, s[0:1], vcc
	v_addc_co_u32_e32 v7, vcc, 0, v7, vcc
	v_cmp_gt_i32_e32 vcc, 31, v9
	v_cndmask_b32_e32 v7, v15, v7, vcc
	v_cmp_ne_u32_e32 vcc, 0, v5
	v_cndmask_b32_e64 v5, 0, 1, vcc
	v_lshl_or_b32 v5, v5, 9, v15
	v_cmp_eq_u32_e32 vcc, s10, v9
	v_cndmask_b32_e32 v5, v7, v5, vcc
	v_lshrrev_b32_e32 v7, 16, v23
	v_and_or_b32 v5, v7, s11, v5
	v_and_or_b32 v7, v13, s6, v12
	v_cmp_ne_u32_e32 vcc, 0, v7
	v_cndmask_b32_e64 v7, 0, 1, vcc
	v_lshrrev_b32_e32 v9, 8, v13
	v_bfe_u32 v11, v13, 20, 11
	v_and_or_b32 v7, v9, s7, v7
	v_sub_u32_e32 v12, 0x3f1, v11
	v_or_b32_e32 v9, 0x1000, v7
	v_med3_i32 v12, v12, 0, 13
	v_lshrrev_b32_e32 v20, v12, v9
	v_lshlrev_b32_e32 v12, v12, v20
	v_cmp_ne_u32_e32 vcc, v12, v9
	v_cndmask_b32_e64 v9, 0, 1, vcc
	v_or_b32_e32 v9, v20, v9
	v_add_u32_e32 v20, 0xfffffc10, v11
	v_lshl_or_b32 v11, v20, 12, v7
	v_cmp_gt_i32_e32 vcc, 1, v20
	v_cndmask_b32_e32 v9, v11, v9, vcc
	v_and_b32_e32 v11, 7, v9
	v_cmp_lt_i32_e32 vcc, 5, v11
	v_cmp_eq_u32_e64 s[0:1], 3, v11
	ds_read2_b32 v[11:12], v74 offset0:64 offset1:160
	v_lshrrev_b32_e32 v9, 2, v9
	s_or_b64 vcc, s[0:1], vcc
	v_addc_co_u32_e32 v9, vcc, 0, v9, vcc
	s_waitcnt lgkmcnt(0)
	v_lshrrev_b32_e32 v22, 16, v11
	v_mul_f16_sdwa v21, v66, v22 dst_sel:DWORD dst_unused:UNUSED_PAD src0_sel:WORD_1 src1_sel:DWORD
	v_fma_f16 v21, v66, v11, v21
	v_cvt_f32_f16_e32 v21, v21
	v_cmp_gt_i32_e32 vcc, 31, v20
	v_cndmask_b32_e32 v9, v15, v9, vcc
	v_cmp_ne_u32_e32 vcc, 0, v7
	v_cndmask_b32_e64 v7, 0, 1, vcc
	v_cmp_eq_u32_e32 vcc, s10, v20
	v_cvt_f64_f32_e32 v[20:21], v21
	v_lshl_or_b32 v7, v7, 9, v15
	v_cndmask_b32_e32 v7, v9, v7, vcc
	v_lshrrev_b32_e32 v9, 16, v13
	v_mul_f64 v[20:21], v[20:21], s[2:3]
	v_and_or_b32 v7, v9, s11, v7
	v_and_b32_e32 v5, 0xffff, v5
	v_lshl_or_b32 v5, v7, 16, v5
	v_mov_b32_e32 v7, s12
	v_add_co_u32_e32 v18, vcc, s13, v18
	v_addc_co_u32_e32 v19, vcc, v19, v7, vcc
	global_store_dword v[18:19], v5, off
	v_and_or_b32 v5, v21, s6, v20
	v_cmp_ne_u32_e32 vcc, 0, v5
	v_cndmask_b32_e64 v5, 0, 1, vcc
	v_lshrrev_b32_e32 v7, 8, v21
	v_bfe_u32 v9, v21, 20, 11
	v_mul_f16_sdwa v11, v66, v11 dst_sel:DWORD dst_unused:UNUSED_PAD src0_sel:WORD_1 src1_sel:DWORD
	v_and_or_b32 v5, v7, s7, v5
	v_sub_u32_e32 v13, 0x3f1, v9
	v_fma_f16 v11, v66, v22, -v11
	v_or_b32_e32 v7, 0x1000, v5
	v_med3_i32 v13, v13, 0, 13
	v_cvt_f32_f16_e32 v11, v11
	v_lshrrev_b32_e32 v20, v13, v7
	v_lshlrev_b32_e32 v13, v13, v20
	v_cmp_ne_u32_e32 vcc, v13, v7
	v_cndmask_b32_e64 v7, 0, 1, vcc
	v_add_u32_e32 v9, 0xfffffc10, v9
	v_cvt_f64_f32_e32 v[22:23], v11
	v_or_b32_e32 v7, v20, v7
	v_lshl_or_b32 v13, v9, 12, v5
	v_cmp_gt_i32_e32 vcc, 1, v9
	v_cndmask_b32_e32 v7, v13, v7, vcc
	v_and_b32_e32 v13, 7, v7
	v_cmp_lt_i32_e32 vcc, 5, v13
	v_cmp_eq_u32_e64 s[0:1], 3, v13
	v_mul_f64 v[22:23], v[22:23], s[2:3]
	v_lshrrev_b32_e32 v7, 2, v7
	s_or_b64 vcc, s[0:1], vcc
	v_addc_co_u32_e32 v7, vcc, 0, v7, vcc
	v_cmp_gt_i32_e32 vcc, 31, v9
	v_cndmask_b32_e32 v7, v15, v7, vcc
	v_cmp_ne_u32_e32 vcc, 0, v5
	v_cndmask_b32_e64 v5, 0, 1, vcc
	v_lshl_or_b32 v5, v5, 9, v15
	v_cmp_eq_u32_e32 vcc, s10, v9
	v_cndmask_b32_e32 v5, v7, v5, vcc
	v_lshrrev_b32_e32 v7, 16, v21
	v_and_or_b32 v5, v7, s11, v5
	v_and_or_b32 v7, v23, s6, v22
	v_cmp_ne_u32_e32 vcc, 0, v7
	v_cndmask_b32_e64 v7, 0, 1, vcc
	v_lshrrev_b32_e32 v9, 8, v23
	v_bfe_u32 v11, v23, 20, 11
	v_and_or_b32 v7, v9, s7, v7
	v_sub_u32_e32 v13, 0x3f1, v11
	v_or_b32_e32 v9, 0x1000, v7
	v_med3_i32 v13, v13, 0, 13
	v_lshrrev_b32_e32 v20, v13, v9
	v_lshlrev_b32_e32 v13, v13, v20
	v_cmp_ne_u32_e32 vcc, v13, v9
	v_cndmask_b32_e64 v9, 0, 1, vcc
	v_add_u32_e32 v11, 0xfffffc10, v11
	v_or_b32_e32 v9, v20, v9
	v_lshl_or_b32 v13, v11, 12, v7
	v_cmp_gt_i32_e32 vcc, 1, v11
	v_cndmask_b32_e32 v9, v13, v9, vcc
	v_and_b32_e32 v13, 7, v9
	v_cmp_lt_i32_e32 vcc, 5, v13
	v_cmp_eq_u32_e64 s[0:1], 3, v13
	v_lshrrev_b32_e32 v13, 16, v14
	v_mul_f16_sdwa v20, v67, v13 dst_sel:DWORD dst_unused:UNUSED_PAD src0_sel:WORD_1 src1_sel:DWORD
	v_fma_f16 v20, v67, v14, v20
	v_cvt_f32_f16_e32 v20, v20
	v_lshrrev_b32_e32 v9, 2, v9
	s_or_b64 vcc, s[0:1], vcc
	v_addc_co_u32_e32 v9, vcc, 0, v9, vcc
	v_cvt_f64_f32_e32 v[20:21], v20
	v_cmp_gt_i32_e32 vcc, 31, v11
	v_cndmask_b32_e32 v9, v15, v9, vcc
	v_cmp_ne_u32_e32 vcc, 0, v7
	v_mul_f64 v[20:21], v[20:21], s[2:3]
	v_cndmask_b32_e64 v7, 0, 1, vcc
	v_lshl_or_b32 v7, v7, 9, v15
	v_cmp_eq_u32_e32 vcc, s10, v11
	v_cndmask_b32_e32 v7, v9, v7, vcc
	v_lshrrev_b32_e32 v9, 16, v23
	v_and_or_b32 v7, v9, s11, v7
	v_and_b32_e32 v5, 0xffff, v5
	v_lshl_or_b32 v5, v7, 16, v5
	v_mov_b32_e32 v7, s4
	v_add_co_u32_e32 v18, vcc, s5, v18
	v_addc_co_u32_e32 v19, vcc, v19, v7, vcc
	global_store_dword v[18:19], v5, off
	v_and_or_b32 v5, v21, s6, v20
	v_cmp_ne_u32_e32 vcc, 0, v5
	v_cndmask_b32_e64 v5, 0, 1, vcc
	v_lshrrev_b32_e32 v7, 8, v21
	v_bfe_u32 v9, v21, 20, 11
	v_mul_f16_sdwa v14, v67, v14 dst_sel:DWORD dst_unused:UNUSED_PAD src0_sel:WORD_1 src1_sel:DWORD
	v_and_or_b32 v5, v7, s7, v5
	v_sub_u32_e32 v11, 0x3f1, v9
	v_fma_f16 v13, v67, v13, -v14
	v_or_b32_e32 v7, 0x1000, v5
	v_med3_i32 v11, v11, 0, 13
	v_cvt_f32_f16_e32 v13, v13
	v_lshrrev_b32_e32 v20, v11, v7
	v_lshlrev_b32_e32 v11, v11, v20
	v_cmp_ne_u32_e32 vcc, v11, v7
	v_cndmask_b32_e64 v7, 0, 1, vcc
	v_add_u32_e32 v9, 0xfffffc10, v9
	v_cvt_f64_f32_e32 v[13:14], v13
	v_or_b32_e32 v7, v20, v7
	v_lshl_or_b32 v11, v9, 12, v5
	v_cmp_gt_i32_e32 vcc, 1, v9
	v_cndmask_b32_e32 v7, v11, v7, vcc
	v_and_b32_e32 v11, 7, v7
	v_cmp_lt_i32_e32 vcc, 5, v11
	v_cmp_eq_u32_e64 s[0:1], 3, v11
	v_mul_f64 v[22:23], v[13:14], s[2:3]
	v_lshrrev_b32_e32 v7, 2, v7
	s_or_b64 vcc, s[0:1], vcc
	v_addc_co_u32_e32 v7, vcc, 0, v7, vcc
	v_cmp_gt_i32_e32 vcc, 31, v9
	v_cndmask_b32_e32 v7, v15, v7, vcc
	v_cmp_ne_u32_e32 vcc, 0, v5
	v_cndmask_b32_e64 v5, 0, 1, vcc
	v_lshl_or_b32 v5, v5, 9, v15
	v_cmp_eq_u32_e32 vcc, s10, v9
	v_cndmask_b32_e32 v5, v7, v5, vcc
	v_lshrrev_b32_e32 v7, 16, v21
	v_and_or_b32 v5, v7, s11, v5
	v_and_or_b32 v7, v23, s6, v22
	v_cmp_ne_u32_e32 vcc, 0, v7
	v_cndmask_b32_e64 v7, 0, 1, vcc
	v_lshrrev_b32_e32 v9, 8, v23
	v_bfe_u32 v11, v23, 20, 11
	v_and_or_b32 v7, v9, s7, v7
	v_sub_u32_e32 v13, 0x3f1, v11
	v_or_b32_e32 v9, 0x1000, v7
	v_med3_i32 v13, v13, 0, 13
	v_lshrrev_b32_e32 v14, v13, v9
	v_lshlrev_b32_e32 v13, v13, v14
	v_cmp_ne_u32_e32 vcc, v13, v9
	v_cndmask_b32_e64 v9, 0, 1, vcc
	v_add_u32_e32 v11, 0xfffffc10, v11
	v_or_b32_e32 v9, v14, v9
	v_lshl_or_b32 v13, v11, 12, v7
	v_cmp_gt_i32_e32 vcc, 1, v11
	v_cndmask_b32_e32 v9, v13, v9, vcc
	v_and_b32_e32 v13, 7, v9
	v_cmp_lt_i32_e32 vcc, 5, v13
	v_cmp_eq_u32_e64 s[0:1], 3, v13
	ds_read2_b32 v[13:14], v69 offset0:128 offset1:224
	v_lshrrev_b32_e32 v9, 2, v9
	s_or_b64 vcc, s[0:1], vcc
	v_addc_co_u32_e32 v9, vcc, 0, v9, vcc
	s_waitcnt lgkmcnt(0)
	v_lshrrev_b32_e32 v22, 16, v13
	v_mul_f16_sdwa v20, v64, v22 dst_sel:DWORD dst_unused:UNUSED_PAD src0_sel:WORD_1 src1_sel:DWORD
	v_fma_f16 v20, v64, v13, v20
	v_cvt_f32_f16_e32 v20, v20
	v_cmp_gt_i32_e32 vcc, 31, v11
	v_cndmask_b32_e32 v9, v15, v9, vcc
	v_cmp_ne_u32_e32 vcc, 0, v7
	v_cvt_f64_f32_e32 v[20:21], v20
	v_cndmask_b32_e64 v7, 0, 1, vcc
	v_lshl_or_b32 v7, v7, 9, v15
	v_cmp_eq_u32_e32 vcc, s10, v11
	v_mul_f64 v[20:21], v[20:21], s[2:3]
	v_cndmask_b32_e32 v7, v9, v7, vcc
	v_lshrrev_b32_e32 v9, 16, v23
	v_and_or_b32 v7, v9, s11, v7
	v_and_b32_e32 v5, 0xffff, v5
	v_lshl_or_b32 v5, v7, 16, v5
	v_mov_b32_e32 v7, s4
	v_add_co_u32_e32 v18, vcc, s5, v18
	v_addc_co_u32_e32 v19, vcc, v19, v7, vcc
	global_store_dword v[18:19], v5, off
	v_and_or_b32 v5, v21, s6, v20
	v_cmp_ne_u32_e32 vcc, 0, v5
	v_cndmask_b32_e64 v5, 0, 1, vcc
	v_lshrrev_b32_e32 v7, 8, v21
	v_bfe_u32 v9, v21, 20, 11
	v_mul_f16_sdwa v13, v64, v13 dst_sel:DWORD dst_unused:UNUSED_PAD src0_sel:WORD_1 src1_sel:DWORD
	v_and_or_b32 v5, v7, s7, v5
	v_sub_u32_e32 v11, 0x3f1, v9
	v_fma_f16 v13, v64, v22, -v13
	v_or_b32_e32 v7, 0x1000, v5
	v_med3_i32 v11, v11, 0, 13
	v_cvt_f32_f16_e32 v13, v13
	v_lshrrev_b32_e32 v20, v11, v7
	v_lshlrev_b32_e32 v11, v11, v20
	v_cmp_ne_u32_e32 vcc, v11, v7
	v_cndmask_b32_e64 v7, 0, 1, vcc
	v_add_u32_e32 v9, 0xfffffc10, v9
	v_cvt_f64_f32_e32 v[22:23], v13
	v_or_b32_e32 v7, v20, v7
	v_lshl_or_b32 v11, v9, 12, v5
	v_cmp_gt_i32_e32 vcc, 1, v9
	v_cndmask_b32_e32 v7, v11, v7, vcc
	v_and_b32_e32 v11, 7, v7
	v_cmp_lt_i32_e32 vcc, 5, v11
	v_cmp_eq_u32_e64 s[0:1], 3, v11
	v_mul_f64 v[22:23], v[22:23], s[2:3]
	v_lshrrev_b32_e32 v7, 2, v7
	s_or_b64 vcc, s[0:1], vcc
	v_addc_co_u32_e32 v7, vcc, 0, v7, vcc
	v_cmp_gt_i32_e32 vcc, 31, v9
	v_cndmask_b32_e32 v7, v15, v7, vcc
	v_cmp_ne_u32_e32 vcc, 0, v5
	v_cndmask_b32_e64 v5, 0, 1, vcc
	v_lshl_or_b32 v5, v5, 9, v15
	v_cmp_eq_u32_e32 vcc, s10, v9
	v_cndmask_b32_e32 v5, v7, v5, vcc
	v_lshrrev_b32_e32 v7, 16, v21
	v_and_or_b32 v7, v7, s11, v5
	v_and_or_b32 v5, v23, s6, v22
	v_cmp_ne_u32_e32 vcc, 0, v5
	v_cndmask_b32_e64 v5, 0, 1, vcc
	v_lshrrev_b32_e32 v9, 8, v23
	v_bfe_u32 v11, v23, 20, 11
	v_and_or_b32 v5, v9, s7, v5
	v_sub_u32_e32 v13, 0x3f1, v11
	v_or_b32_e32 v9, 0x1000, v5
	v_med3_i32 v13, v13, 0, 13
	v_lshrrev_b32_e32 v20, v13, v9
	v_lshlrev_b32_e32 v13, v13, v20
	v_cmp_ne_u32_e32 vcc, v13, v9
	v_cndmask_b32_e64 v9, 0, 1, vcc
	v_add_u32_e32 v11, 0xfffffc10, v11
	v_or_b32_e32 v9, v20, v9
	v_lshl_or_b32 v13, v11, 12, v5
	v_cmp_gt_i32_e32 vcc, 1, v11
	v_cndmask_b32_e32 v9, v13, v9, vcc
	v_and_b32_e32 v13, 7, v9
	v_cmp_lt_i32_e32 vcc, 5, v13
	v_cmp_eq_u32_e64 s[0:1], 3, v13
	v_lshrrev_b32_e32 v9, 2, v9
	s_or_b64 vcc, s[0:1], vcc
	v_addc_co_u32_e32 v9, vcc, 0, v9, vcc
	v_cmp_gt_i32_e32 vcc, 31, v11
	v_cndmask_b32_e32 v9, v15, v9, vcc
	v_cmp_ne_u32_e32 vcc, 0, v5
	v_cndmask_b32_e64 v5, 0, 1, vcc
	v_cmp_eq_u32_e32 vcc, s10, v11
	v_lshrrev_b32_e32 v11, 16, v0
	v_mad_u64_u32 v[20:21], s[0:1], s8, v63, 0
	v_mul_f16_sdwa v13, v60, v11 dst_sel:DWORD dst_unused:UNUSED_PAD src0_sel:WORD_1 src1_sel:DWORD
	v_fma_f16 v13, v60, v0, v13
	v_cvt_f32_f16_e32 v13, v13
	v_lshl_or_b32 v5, v5, 9, v15
	v_cndmask_b32_e32 v9, v9, v5, vcc
	v_mov_b32_e32 v5, v21
	v_mad_u64_u32 v[21:22], s[0:1], s9, v63, v[5:6]
	v_lshrrev_b32_e32 v5, 16, v23
	v_cvt_f64_f32_e32 v[22:23], v13
	v_lshlrev_b64 v[20:21], 2, v[20:21]
	v_and_or_b32 v5, v5, s11, v9
	v_and_b32_e32 v7, 0xffff, v7
	v_mul_f64 v[22:23], v[22:23], s[2:3]
	v_add_co_u32_e32 v20, vcc, v16, v20
	v_lshl_or_b32 v5, v5, 16, v7
	v_addc_co_u32_e32 v21, vcc, v17, v21, vcc
	global_store_dword v[20:21], v5, off
	v_mul_f16_sdwa v0, v60, v0 dst_sel:DWORD dst_unused:UNUSED_PAD src0_sel:WORD_1 src1_sel:DWORD
	v_and_or_b32 v5, v23, s6, v22
	v_cmp_ne_u32_e32 vcc, 0, v5
	v_cndmask_b32_e64 v5, 0, 1, vcc
	v_lshrrev_b32_e32 v7, 8, v23
	v_bfe_u32 v9, v23, 20, 11
	v_and_or_b32 v5, v7, s7, v5
	v_sub_u32_e32 v13, 0x3f1, v9
	v_or_b32_e32 v7, 0x1000, v5
	v_med3_i32 v13, v13, 0, 13
	v_fma_f16 v0, v60, v11, -v0
	v_lshrrev_b32_e32 v20, v13, v7
	v_cvt_f32_f16_e32 v0, v0
	v_lshlrev_b32_e32 v13, v13, v20
	v_cmp_ne_u32_e32 vcc, v13, v7
	v_cndmask_b32_e64 v7, 0, 1, vcc
	v_or_b32_e32 v7, v20, v7
	v_add_u32_e32 v9, 0xfffffc10, v9
	v_cvt_f64_f32_e32 v[20:21], v0
	v_lshl_or_b32 v13, v9, 12, v5
	v_cmp_gt_i32_e32 vcc, 1, v9
	v_cndmask_b32_e32 v7, v13, v7, vcc
	v_and_b32_e32 v13, 7, v7
	v_cmp_lt_i32_e32 vcc, 5, v13
	v_cmp_eq_u32_e64 s[0:1], 3, v13
	v_mul_f64 v[20:21], v[20:21], s[2:3]
	v_lshrrev_b32_e32 v7, 2, v7
	s_or_b64 vcc, s[0:1], vcc
	v_addc_co_u32_e32 v0, vcc, 0, v7, vcc
	v_cmp_gt_i32_e32 vcc, 31, v9
	v_cndmask_b32_e32 v0, v15, v0, vcc
	v_cmp_ne_u32_e32 vcc, 0, v5
	v_cndmask_b32_e64 v5, 0, 1, vcc
	v_lshl_or_b32 v5, v5, 9, v15
	v_cmp_eq_u32_e32 vcc, s10, v9
	v_cndmask_b32_e32 v0, v0, v5, vcc
	v_lshrrev_b32_e32 v5, 16, v23
	v_and_or_b32 v0, v5, s11, v0
	v_and_or_b32 v5, v21, s6, v20
	v_cmp_ne_u32_e32 vcc, 0, v5
	v_cndmask_b32_e64 v5, 0, 1, vcc
	v_lshrrev_b32_e32 v7, 8, v21
	v_bfe_u32 v9, v21, 20, 11
	v_and_or_b32 v5, v7, s7, v5
	v_sub_u32_e32 v11, 0x3f1, v9
	v_or_b32_e32 v7, 0x1000, v5
	v_med3_i32 v11, v11, 0, 13
	v_lshrrev_b32_e32 v13, v11, v7
	v_lshlrev_b32_e32 v11, v11, v13
	v_cmp_ne_u32_e32 vcc, v11, v7
	v_cndmask_b32_e64 v7, 0, 1, vcc
	v_add_u32_e32 v9, 0xfffffc10, v9
	v_or_b32_e32 v7, v13, v7
	v_lshl_or_b32 v11, v9, 12, v5
	v_cmp_gt_i32_e32 vcc, 1, v9
	v_cndmask_b32_e32 v7, v11, v7, vcc
	v_and_b32_e32 v11, 7, v7
	v_cmp_lt_i32_e32 vcc, 5, v11
	v_cmp_eq_u32_e64 s[0:1], 3, v11
	v_lshrrev_b32_e32 v11, 16, v6
	v_mul_f16_sdwa v13, v58, v11 dst_sel:DWORD dst_unused:UNUSED_PAD src0_sel:WORD_1 src1_sel:DWORD
	v_fma_f16 v13, v58, v6, v13
	v_cvt_f32_f16_e32 v13, v13
	v_lshrrev_b32_e32 v7, 2, v7
	s_or_b64 vcc, s[0:1], vcc
	v_addc_co_u32_e32 v7, vcc, 0, v7, vcc
	v_cmp_gt_i32_e32 vcc, 31, v9
	v_cvt_f64_f32_e32 v[22:23], v13
	v_cndmask_b32_e32 v7, v15, v7, vcc
	v_cmp_ne_u32_e32 vcc, 0, v5
	v_cndmask_b32_e64 v5, 0, 1, vcc
	v_lshl_or_b32 v5, v5, 9, v15
	v_cmp_eq_u32_e32 vcc, s10, v9
	v_cndmask_b32_e32 v5, v7, v5, vcc
	v_lshrrev_b32_e32 v7, 16, v21
	v_mul_f64 v[20:21], v[22:23], s[2:3]
	v_mad_u64_u32 v[18:19], s[0:1], s8, v62, v[18:19]
	s_mul_i32 s0, s9, 0xffffdd80
	v_and_or_b32 v5, v7, s11, v5
	v_and_b32_e32 v0, 0xffff, v0
	s_sub_i32 s0, s0, s8
	v_lshl_or_b32 v0, v5, 16, v0
	v_add_u32_e32 v19, s0, v19
	global_store_dword v[18:19], v0, off
	v_and_or_b32 v0, v21, s6, v20
	v_cmp_ne_u32_e32 vcc, 0, v0
	v_cndmask_b32_e64 v0, 0, 1, vcc
	v_lshrrev_b32_e32 v5, 8, v21
	v_bfe_u32 v7, v21, 20, 11
	v_and_or_b32 v0, v5, s7, v0
	v_sub_u32_e32 v9, 0x3f1, v7
	v_or_b32_e32 v5, 0x1000, v0
	v_med3_i32 v9, v9, 0, 13
	v_lshrrev_b32_e32 v13, v9, v5
	v_lshlrev_b32_e32 v9, v9, v13
	v_mul_f16_sdwa v6, v58, v6 dst_sel:DWORD dst_unused:UNUSED_PAD src0_sel:WORD_1 src1_sel:DWORD
	v_cmp_ne_u32_e32 vcc, v9, v5
	v_fma_f16 v6, v58, v11, -v6
	v_cndmask_b32_e64 v5, 0, 1, vcc
	v_add_u32_e32 v7, 0xfffffc10, v7
	v_cvt_f32_f16_e32 v6, v6
	v_or_b32_e32 v5, v13, v5
	v_lshl_or_b32 v9, v7, 12, v0
	v_cmp_gt_i32_e32 vcc, 1, v7
	v_cndmask_b32_e32 v5, v9, v5, vcc
	v_and_b32_e32 v9, 7, v5
	v_cmp_lt_i32_e32 vcc, 5, v9
	v_cmp_eq_u32_e64 s[0:1], 3, v9
	v_lshrrev_b32_e32 v9, 2, v5
	v_cvt_f64_f32_e32 v[5:6], v6
	s_or_b64 vcc, s[0:1], vcc
	v_addc_co_u32_e32 v9, vcc, 0, v9, vcc
	v_mul_f64 v[5:6], v[5:6], s[2:3]
	v_cmp_gt_i32_e32 vcc, 31, v7
	v_cndmask_b32_e32 v9, v15, v9, vcc
	v_cmp_ne_u32_e32 vcc, 0, v0
	v_cndmask_b32_e64 v0, 0, 1, vcc
	v_lshl_or_b32 v0, v0, 9, v15
	v_cmp_eq_u32_e32 vcc, s10, v7
	v_cndmask_b32_e32 v0, v9, v0, vcc
	v_and_or_b32 v5, v6, s6, v5
	v_lshrrev_b32_e32 v7, 16, v21
	v_cmp_ne_u32_e32 vcc, 0, v5
	v_and_or_b32 v0, v7, s11, v0
	v_cndmask_b32_e64 v5, 0, 1, vcc
	v_lshrrev_b32_e32 v7, 8, v6
	v_bfe_u32 v9, v6, 20, 11
	v_and_or_b32 v5, v7, s7, v5
	v_sub_u32_e32 v11, 0x3f1, v9
	v_or_b32_e32 v7, 0x1000, v5
	v_med3_i32 v11, v11, 0, 13
	v_lshrrev_b32_e32 v13, v11, v7
	v_lshlrev_b32_e32 v11, v11, v13
	v_cmp_ne_u32_e32 vcc, v11, v7
	v_cndmask_b32_e64 v7, 0, 1, vcc
	v_add_u32_e32 v9, 0xfffffc10, v9
	v_or_b32_e32 v7, v13, v7
	v_lshl_or_b32 v11, v9, 12, v5
	v_cmp_gt_i32_e32 vcc, 1, v9
	v_cndmask_b32_e32 v7, v11, v7, vcc
	v_and_b32_e32 v11, 7, v7
	v_cmp_lt_i32_e32 vcc, 5, v11
	v_cmp_eq_u32_e64 s[0:1], 3, v11
	v_lshrrev_b32_e32 v11, 16, v1
	v_mul_f16_sdwa v13, v57, v11 dst_sel:DWORD dst_unused:UNUSED_PAD src0_sel:WORD_1 src1_sel:DWORD
	v_fma_f16 v13, v57, v1, v13
	v_cvt_f32_f16_e32 v13, v13
	v_lshrrev_b32_e32 v7, 2, v7
	s_or_b64 vcc, s[0:1], vcc
	v_addc_co_u32_e32 v7, vcc, 0, v7, vcc
	v_cmp_gt_i32_e32 vcc, 31, v9
	v_cndmask_b32_e32 v7, v15, v7, vcc
	v_cmp_ne_u32_e32 vcc, 0, v5
	v_cvt_f64_f32_e32 v[20:21], v13
	v_cndmask_b32_e64 v5, 0, 1, vcc
	v_lshl_or_b32 v5, v5, 9, v15
	v_cmp_eq_u32_e32 vcc, s10, v9
	v_cndmask_b32_e32 v5, v7, v5, vcc
	v_lshrrev_b32_e32 v6, 16, v6
	v_and_or_b32 v7, v6, s11, v5
	v_mul_f64 v[5:6], v[20:21], s[2:3]
	v_and_b32_e32 v0, 0xffff, v0
	v_lshl_or_b32 v0, v7, 16, v0
	v_mov_b32_e32 v7, s4
	v_add_co_u32_e32 v18, vcc, s5, v18
	v_addc_co_u32_e32 v19, vcc, v19, v7, vcc
	global_store_dword v[18:19], v0, off
	v_and_or_b32 v0, v6, s6, v5
	v_cmp_ne_u32_e32 vcc, 0, v0
	v_cndmask_b32_e64 v0, 0, 1, vcc
	v_lshrrev_b32_e32 v5, 8, v6
	v_bfe_u32 v7, v6, 20, 11
	v_and_or_b32 v5, v5, s7, v0
	v_sub_u32_e32 v9, 0x3f1, v7
	v_or_b32_e32 v0, 0x1000, v5
	v_med3_i32 v9, v9, 0, 13
	v_lshrrev_b32_e32 v13, v9, v0
	v_lshlrev_b32_e32 v9, v9, v13
	v_mul_f16_sdwa v1, v57, v1 dst_sel:DWORD dst_unused:UNUSED_PAD src0_sel:WORD_1 src1_sel:DWORD
	v_cmp_ne_u32_e32 vcc, v9, v0
	v_fma_f16 v1, v57, v11, -v1
	v_cndmask_b32_e64 v0, 0, 1, vcc
	v_add_u32_e32 v7, 0xfffffc10, v7
	v_cvt_f32_f16_e32 v1, v1
	v_or_b32_e32 v0, v13, v0
	v_lshl_or_b32 v9, v7, 12, v5
	v_cmp_gt_i32_e32 vcc, 1, v7
	v_cndmask_b32_e32 v0, v9, v0, vcc
	v_and_b32_e32 v9, 7, v0
	v_cmp_lt_i32_e32 vcc, 5, v9
	v_cmp_eq_u32_e64 s[0:1], 3, v9
	v_lshrrev_b32_e32 v9, 2, v0
	v_cvt_f64_f32_e32 v[0:1], v1
	s_or_b64 vcc, s[0:1], vcc
	v_addc_co_u32_e32 v9, vcc, 0, v9, vcc
	v_mul_f64 v[0:1], v[0:1], s[2:3]
	v_cmp_gt_i32_e32 vcc, 31, v7
	v_cndmask_b32_e32 v9, v15, v9, vcc
	v_cmp_ne_u32_e32 vcc, 0, v5
	v_cndmask_b32_e64 v5, 0, 1, vcc
	v_lshl_or_b32 v5, v5, 9, v15
	v_cmp_eq_u32_e32 vcc, s10, v7
	v_cndmask_b32_e32 v5, v9, v5, vcc
	v_and_or_b32 v0, v1, s6, v0
	v_lshrrev_b32_e32 v6, 16, v6
	v_cmp_ne_u32_e32 vcc, 0, v0
	v_and_or_b32 v9, v6, s11, v5
	v_cndmask_b32_e64 v0, 0, 1, vcc
	v_lshrrev_b32_e32 v5, 8, v1
	v_bfe_u32 v6, v1, 20, 11
	v_and_or_b32 v0, v5, s7, v0
	v_sub_u32_e32 v7, 0x3f1, v6
	v_or_b32_e32 v5, 0x1000, v0
	v_med3_i32 v7, v7, 0, 13
	v_lshrrev_b32_e32 v11, v7, v5
	v_lshlrev_b32_e32 v7, v7, v11
	v_cmp_ne_u32_e32 vcc, v7, v5
	v_cndmask_b32_e64 v5, 0, 1, vcc
	v_add_u32_e32 v7, 0xfffffc10, v6
	v_or_b32_e32 v5, v11, v5
	v_lshl_or_b32 v6, v7, 12, v0
	v_cmp_gt_i32_e32 vcc, 1, v7
	v_cndmask_b32_e32 v5, v6, v5, vcc
	v_and_b32_e32 v6, 7, v5
	v_cmp_lt_i32_e32 vcc, 5, v6
	v_cmp_eq_u32_e64 s[0:1], 3, v6
	v_lshrrev_b32_e32 v5, 2, v5
	s_or_b64 vcc, s[0:1], vcc
	v_addc_co_u32_e32 v5, vcc, 0, v5, vcc
	v_cmp_gt_i32_e32 vcc, 31, v7
	v_cndmask_b32_e32 v11, v15, v5, vcc
	v_mad_u64_u32 v[5:6], s[0:1], s8, v61, 0
	v_cmp_ne_u32_e32 vcc, 0, v0
	v_cndmask_b32_e64 v0, 0, 1, vcc
	v_lshl_or_b32 v0, v0, 9, v15
	v_cmp_eq_u32_e32 vcc, s10, v7
	v_lshrrev_b32_e32 v13, 16, v8
	v_cndmask_b32_e32 v11, v11, v0, vcc
	v_mov_b32_e32 v0, v6
	v_mul_f16_sdwa v6, v59, v13 dst_sel:DWORD dst_unused:UNUSED_PAD src0_sel:WORD_1 src1_sel:DWORD
	v_fma_f16 v6, v59, v8, v6
	v_cvt_f32_f16_e32 v20, v6
	v_mad_u64_u32 v[6:7], s[0:1], s9, v61, v[0:1]
	v_lshrrev_b32_e32 v7, 16, v1
	v_cvt_f64_f32_e32 v[0:1], v20
	v_lshlrev_b64 v[5:6], 2, v[5:6]
	v_and_or_b32 v7, v7, s11, v11
	v_add_co_u32_e32 v5, vcc, v16, v5
	v_mul_f64 v[0:1], v[0:1], s[2:3]
	v_and_b32_e32 v9, 0xffff, v9
	v_addc_co_u32_e32 v6, vcc, v17, v6, vcc
	v_lshl_or_b32 v7, v7, 16, v9
	global_store_dword v[5:6], v7, off
	v_mul_f16_sdwa v8, v59, v8 dst_sel:DWORD dst_unused:UNUSED_PAD src0_sel:WORD_1 src1_sel:DWORD
	v_fma_f16 v8, v59, v13, -v8
	v_and_or_b32 v0, v1, s6, v0
	v_cmp_ne_u32_e32 vcc, 0, v0
	v_cndmask_b32_e64 v0, 0, 1, vcc
	v_lshrrev_b32_e32 v5, 8, v1
	v_bfe_u32 v6, v1, 20, 11
	v_and_or_b32 v0, v5, s7, v0
	v_sub_u32_e32 v7, 0x3f1, v6
	v_or_b32_e32 v5, 0x1000, v0
	v_med3_i32 v7, v7, 0, 13
	v_lshrrev_b32_e32 v9, v7, v5
	v_lshlrev_b32_e32 v7, v7, v9
	v_cmp_ne_u32_e32 vcc, v7, v5
	v_cndmask_b32_e64 v5, 0, 1, vcc
	v_add_u32_e32 v7, 0xfffffc10, v6
	v_cvt_f32_f16_e32 v8, v8
	v_or_b32_e32 v5, v9, v5
	v_lshl_or_b32 v6, v7, 12, v0
	v_cmp_gt_i32_e32 vcc, 1, v7
	v_cndmask_b32_e32 v5, v6, v5, vcc
	v_and_b32_e32 v6, 7, v5
	v_cmp_lt_i32_e32 vcc, 5, v6
	v_cmp_eq_u32_e64 s[0:1], 3, v6
	v_lshrrev_b32_e32 v9, 2, v5
	v_cvt_f64_f32_e32 v[5:6], v8
	s_or_b64 vcc, s[0:1], vcc
	v_addc_co_u32_e32 v8, vcc, 0, v9, vcc
	v_mul_f64 v[5:6], v[5:6], s[2:3]
	v_cmp_gt_i32_e32 vcc, 31, v7
	v_cndmask_b32_e32 v8, v15, v8, vcc
	v_cmp_ne_u32_e32 vcc, 0, v0
	v_cndmask_b32_e64 v0, 0, 1, vcc
	v_lshl_or_b32 v0, v0, 9, v15
	v_cmp_eq_u32_e32 vcc, s10, v7
	v_cndmask_b32_e32 v0, v8, v0, vcc
	v_lshrrev_b32_e32 v1, 16, v1
	v_and_or_b32 v7, v1, s11, v0
	v_and_or_b32 v0, v6, s6, v5
	v_cmp_ne_u32_e32 vcc, 0, v0
	v_cndmask_b32_e64 v0, 0, 1, vcc
	v_lshrrev_b32_e32 v1, 8, v6
	v_bfe_u32 v5, v6, 20, 11
	v_and_or_b32 v0, v1, s7, v0
	v_sub_u32_e32 v8, 0x3f1, v5
	v_or_b32_e32 v1, 0x1000, v0
	v_med3_i32 v8, v8, 0, 13
	v_lshrrev_b32_e32 v9, v8, v1
	v_lshlrev_b32_e32 v8, v8, v9
	v_cmp_ne_u32_e32 vcc, v8, v1
	v_cndmask_b32_e64 v1, 0, 1, vcc
	v_add_u32_e32 v5, 0xfffffc10, v5
	v_or_b32_e32 v1, v9, v1
	v_lshl_or_b32 v8, v5, 12, v0
	v_cmp_gt_i32_e32 vcc, 1, v5
	v_cndmask_b32_e32 v1, v8, v1, vcc
	v_and_b32_e32 v8, 7, v1
	v_cmp_lt_i32_e32 vcc, 5, v8
	v_cmp_eq_u32_e64 s[0:1], 3, v8
	v_lshrrev_b32_e32 v8, 16, v2
	v_lshrrev_b32_e32 v1, 2, v1
	s_or_b64 vcc, s[0:1], vcc
	v_mul_f16_sdwa v9, v55, v8 dst_sel:DWORD dst_unused:UNUSED_PAD src0_sel:WORD_1 src1_sel:DWORD
	v_addc_co_u32_e32 v1, vcc, 0, v1, vcc
	v_fma_f16 v9, v55, v2, v9
	v_cmp_gt_i32_e32 vcc, 31, v5
	v_cvt_f32_f16_e32 v9, v9
	v_cndmask_b32_e32 v1, v15, v1, vcc
	v_cmp_ne_u32_e32 vcc, 0, v0
	v_cndmask_b32_e64 v0, 0, 1, vcc
	v_lshl_or_b32 v0, v0, 9, v15
	v_cmp_eq_u32_e32 vcc, s10, v5
	v_cndmask_b32_e32 v5, v1, v0, vcc
	v_cvt_f64_f32_e32 v[0:1], v9
	v_lshrrev_b32_e32 v6, 16, v6
	v_and_or_b32 v5, v6, s11, v5
	v_and_b32_e32 v6, 0xffff, v7
	v_mul_f64 v[0:1], v[0:1], s[2:3]
	v_lshl_or_b32 v7, v5, 16, v6
	v_mov_b32_e32 v6, s12
	v_add_co_u32_e32 v5, vcc, s13, v18
	v_addc_co_u32_e32 v6, vcc, v19, v6, vcc
	global_store_dword v[5:6], v7, off
	v_and_or_b32 v0, v1, s6, v0
	v_cmp_ne_u32_e32 vcc, 0, v0
	v_cndmask_b32_e64 v0, 0, 1, vcc
	v_lshrrev_b32_e32 v7, 8, v1
	v_bfe_u32 v9, v1, 20, 11
	v_and_or_b32 v0, v7, s7, v0
	v_sub_u32_e32 v11, 0x3f1, v9
	v_or_b32_e32 v7, 0x1000, v0
	v_med3_i32 v11, v11, 0, 13
	v_lshrrev_b32_e32 v13, v11, v7
	v_lshlrev_b32_e32 v11, v11, v13
	v_mul_f16_sdwa v2, v55, v2 dst_sel:DWORD dst_unused:UNUSED_PAD src0_sel:WORD_1 src1_sel:DWORD
	v_cmp_ne_u32_e32 vcc, v11, v7
	v_fma_f16 v2, v55, v8, -v2
	v_cndmask_b32_e64 v7, 0, 1, vcc
	v_add_u32_e32 v9, 0xfffffc10, v9
	v_cvt_f32_f16_e32 v2, v2
	v_or_b32_e32 v7, v13, v7
	v_lshl_or_b32 v11, v9, 12, v0
	v_cmp_gt_i32_e32 vcc, 1, v9
	v_cndmask_b32_e32 v7, v11, v7, vcc
	v_and_b32_e32 v11, 7, v7
	v_cmp_lt_i32_e32 vcc, 5, v11
	v_cmp_eq_u32_e64 s[0:1], 3, v11
	v_lshrrev_b32_e32 v11, 2, v7
	v_cvt_f64_f32_e32 v[7:8], v2
	s_or_b64 vcc, s[0:1], vcc
	v_addc_co_u32_e32 v2, vcc, 0, v11, vcc
	v_mul_f64 v[7:8], v[7:8], s[2:3]
	v_cmp_gt_i32_e32 vcc, 31, v9
	v_cndmask_b32_e32 v2, v15, v2, vcc
	v_cmp_ne_u32_e32 vcc, 0, v0
	v_cndmask_b32_e64 v0, 0, 1, vcc
	v_lshl_or_b32 v0, v0, 9, v15
	v_cmp_eq_u32_e32 vcc, s10, v9
	v_cndmask_b32_e32 v0, v2, v0, vcc
	v_lshrrev_b32_e32 v1, 16, v1
	v_and_or_b32 v2, v1, s11, v0
	v_and_or_b32 v0, v8, s6, v7
	v_cmp_ne_u32_e32 vcc, 0, v0
	v_cndmask_b32_e64 v0, 0, 1, vcc
	v_lshrrev_b32_e32 v1, 8, v8
	v_bfe_u32 v7, v8, 20, 11
	v_and_or_b32 v0, v1, s7, v0
	v_sub_u32_e32 v9, 0x3f1, v7
	v_or_b32_e32 v1, 0x1000, v0
	v_med3_i32 v9, v9, 0, 13
	v_lshrrev_b32_e32 v11, v9, v1
	v_lshlrev_b32_e32 v9, v9, v11
	v_cmp_ne_u32_e32 vcc, v9, v1
	v_cndmask_b32_e64 v1, 0, 1, vcc
	v_add_u32_e32 v7, 0xfffffc10, v7
	v_or_b32_e32 v1, v11, v1
	v_lshl_or_b32 v9, v7, 12, v0
	v_cmp_gt_i32_e32 vcc, 1, v7
	v_cndmask_b32_e32 v1, v9, v1, vcc
	v_and_b32_e32 v9, 7, v1
	v_cmp_lt_i32_e32 vcc, 5, v9
	v_cmp_eq_u32_e64 s[0:1], 3, v9
	v_lshrrev_b32_e32 v9, 16, v10
	v_lshrrev_b32_e32 v1, 2, v1
	s_or_b64 vcc, s[0:1], vcc
	v_mul_f16_sdwa v11, v52, v9 dst_sel:DWORD dst_unused:UNUSED_PAD src0_sel:WORD_1 src1_sel:DWORD
	v_addc_co_u32_e32 v1, vcc, 0, v1, vcc
	v_fma_f16 v11, v52, v10, v11
	v_cmp_gt_i32_e32 vcc, 31, v7
	v_cvt_f32_f16_e32 v11, v11
	v_cndmask_b32_e32 v1, v15, v1, vcc
	v_cmp_ne_u32_e32 vcc, 0, v0
	v_cndmask_b32_e64 v0, 0, 1, vcc
	v_lshl_or_b32 v0, v0, 9, v15
	v_cmp_eq_u32_e32 vcc, s10, v7
	v_cndmask_b32_e32 v7, v1, v0, vcc
	v_cvt_f64_f32_e32 v[0:1], v11
	v_lshrrev_b32_e32 v8, 16, v8
	v_and_or_b32 v7, v8, s11, v7
	v_and_b32_e32 v2, 0xffff, v2
	v_mul_f64 v[0:1], v[0:1], s[2:3]
	v_lshl_or_b32 v2, v7, 16, v2
	v_mov_b32_e32 v7, s4
	v_add_co_u32_e32 v5, vcc, s5, v5
	v_addc_co_u32_e32 v6, vcc, v6, v7, vcc
	global_store_dword v[5:6], v2, off
	v_and_or_b32 v0, v1, s6, v0
	v_cmp_ne_u32_e32 vcc, 0, v0
	v_cndmask_b32_e64 v0, 0, 1, vcc
	v_lshrrev_b32_e32 v2, 8, v1
	v_bfe_u32 v7, v1, 20, 11
	v_and_or_b32 v0, v2, s7, v0
	v_sub_u32_e32 v8, 0x3f1, v7
	v_or_b32_e32 v2, 0x1000, v0
	v_med3_i32 v8, v8, 0, 13
	v_lshrrev_b32_e32 v11, v8, v2
	v_lshlrev_b32_e32 v8, v8, v11
	v_cmp_ne_u32_e32 vcc, v8, v2
	v_mul_f16_sdwa v8, v52, v10 dst_sel:DWORD dst_unused:UNUSED_PAD src0_sel:WORD_1 src1_sel:DWORD
	v_cndmask_b32_e64 v2, 0, 1, vcc
	v_fma_f16 v8, v52, v9, -v8
	v_or_b32_e32 v2, v11, v2
	v_add_u32_e32 v11, 0xfffffc10, v7
	v_cvt_f32_f16_e32 v8, v8
	v_lshl_or_b32 v7, v11, 12, v0
	v_cmp_gt_i32_e32 vcc, 1, v11
	v_cndmask_b32_e32 v2, v7, v2, vcc
	v_and_b32_e32 v7, 7, v2
	v_cmp_lt_i32_e32 vcc, 5, v7
	v_cmp_eq_u32_e64 s[0:1], 3, v7
	v_cvt_f64_f32_e32 v[7:8], v8
	v_lshrrev_b32_e32 v2, 2, v2
	s_or_b64 vcc, s[0:1], vcc
	v_addc_co_u32_e32 v2, vcc, 0, v2, vcc
	v_mul_f64 v[7:8], v[7:8], s[2:3]
	v_cmp_gt_i32_e32 vcc, 31, v11
	v_cndmask_b32_e32 v2, v15, v2, vcc
	v_cmp_ne_u32_e32 vcc, 0, v0
	v_cndmask_b32_e64 v0, 0, 1, vcc
	v_lshl_or_b32 v0, v0, 9, v15
	v_cmp_eq_u32_e32 vcc, s10, v11
	v_cndmask_b32_e32 v0, v2, v0, vcc
	v_lshrrev_b32_e32 v1, 16, v1
	v_and_or_b32 v2, v1, s11, v0
	v_and_or_b32 v0, v8, s6, v7
	v_cmp_ne_u32_e32 vcc, 0, v0
	v_cndmask_b32_e64 v0, 0, 1, vcc
	v_lshrrev_b32_e32 v1, 8, v8
	v_bfe_u32 v7, v8, 20, 11
	v_and_or_b32 v0, v1, s7, v0
	v_sub_u32_e32 v9, 0x3f1, v7
	v_or_b32_e32 v1, 0x1000, v0
	v_med3_i32 v9, v9, 0, 13
	v_lshrrev_b32_e32 v10, v9, v1
	v_lshlrev_b32_e32 v9, v9, v10
	v_cmp_ne_u32_e32 vcc, v9, v1
	v_cndmask_b32_e64 v1, 0, 1, vcc
	v_add_u32_e32 v7, 0xfffffc10, v7
	v_or_b32_e32 v1, v10, v1
	v_lshl_or_b32 v9, v7, 12, v0
	v_cmp_gt_i32_e32 vcc, 1, v7
	v_cndmask_b32_e32 v1, v9, v1, vcc
	v_and_b32_e32 v9, 7, v1
	v_cmp_lt_i32_e32 vcc, 5, v9
	v_cmp_eq_u32_e64 s[0:1], 3, v9
	v_lshrrev_b32_e32 v9, 16, v3
	v_lshrrev_b32_e32 v1, 2, v1
	s_or_b64 vcc, s[0:1], vcc
	v_mul_f16_sdwa v10, v56, v9 dst_sel:DWORD dst_unused:UNUSED_PAD src0_sel:WORD_1 src1_sel:DWORD
	v_addc_co_u32_e32 v1, vcc, 0, v1, vcc
	v_fma_f16 v10, v56, v3, v10
	v_cmp_gt_i32_e32 vcc, 31, v7
	v_cvt_f32_f16_e32 v10, v10
	v_cndmask_b32_e32 v1, v15, v1, vcc
	v_cmp_ne_u32_e32 vcc, 0, v0
	v_cndmask_b32_e64 v0, 0, 1, vcc
	v_lshl_or_b32 v0, v0, 9, v15
	v_cmp_eq_u32_e32 vcc, s10, v7
	v_cndmask_b32_e32 v7, v1, v0, vcc
	v_cvt_f64_f32_e32 v[0:1], v10
	v_lshrrev_b32_e32 v8, 16, v8
	v_and_or_b32 v7, v8, s11, v7
	v_and_b32_e32 v2, 0xffff, v2
	v_mul_f64 v[0:1], v[0:1], s[2:3]
	v_lshl_or_b32 v2, v7, 16, v2
	v_mov_b32_e32 v7, s4
	v_add_co_u32_e32 v5, vcc, s5, v5
	v_addc_co_u32_e32 v6, vcc, v6, v7, vcc
	global_store_dword v[5:6], v2, off
	v_and_or_b32 v0, v1, s6, v0
	v_cmp_ne_u32_e32 vcc, 0, v0
	v_cndmask_b32_e64 v0, 0, 1, vcc
	v_lshrrev_b32_e32 v2, 8, v1
	v_bfe_u32 v7, v1, 20, 11
	v_and_or_b32 v0, v2, s7, v0
	v_sub_u32_e32 v8, 0x3f1, v7
	v_or_b32_e32 v2, 0x1000, v0
	v_med3_i32 v8, v8, 0, 13
	v_lshrrev_b32_e32 v10, v8, v2
	v_lshlrev_b32_e32 v8, v8, v10
	v_mul_f16_sdwa v3, v56, v3 dst_sel:DWORD dst_unused:UNUSED_PAD src0_sel:WORD_1 src1_sel:DWORD
	v_cmp_ne_u32_e32 vcc, v8, v2
	v_fma_f16 v3, v56, v9, -v3
	v_cndmask_b32_e64 v2, 0, 1, vcc
	v_add_u32_e32 v7, 0xfffffc10, v7
	v_cvt_f32_f16_e32 v3, v3
	v_or_b32_e32 v2, v10, v2
	v_lshl_or_b32 v8, v7, 12, v0
	v_cmp_gt_i32_e32 vcc, 1, v7
	v_cndmask_b32_e32 v2, v8, v2, vcc
	v_and_b32_e32 v8, 7, v2
	v_cmp_lt_i32_e32 vcc, 5, v8
	v_cmp_eq_u32_e64 s[0:1], 3, v8
	v_lshrrev_b32_e32 v8, 2, v2
	v_cvt_f64_f32_e32 v[2:3], v3
	s_or_b64 vcc, s[0:1], vcc
	v_addc_co_u32_e32 v8, vcc, 0, v8, vcc
	v_mul_f64 v[2:3], v[2:3], s[2:3]
	v_cmp_gt_i32_e32 vcc, 31, v7
	v_cndmask_b32_e32 v8, v15, v8, vcc
	v_cmp_ne_u32_e32 vcc, 0, v0
	v_cndmask_b32_e64 v0, 0, 1, vcc
	v_lshl_or_b32 v0, v0, 9, v15
	v_cmp_eq_u32_e32 vcc, s10, v7
	v_cndmask_b32_e32 v0, v8, v0, vcc
	v_lshrrev_b32_e32 v1, 16, v1
	v_and_or_b32 v7, v1, s11, v0
	v_and_or_b32 v0, v3, s6, v2
	v_cmp_ne_u32_e32 vcc, 0, v0
	v_cndmask_b32_e64 v0, 0, 1, vcc
	v_lshrrev_b32_e32 v1, 8, v3
	v_bfe_u32 v2, v3, 20, 11
	v_and_or_b32 v0, v1, s7, v0
	v_sub_u32_e32 v8, 0x3f1, v2
	v_or_b32_e32 v1, 0x1000, v0
	v_med3_i32 v8, v8, 0, 13
	v_lshrrev_b32_e32 v9, v8, v1
	v_lshlrev_b32_e32 v8, v8, v9
	v_cmp_ne_u32_e32 vcc, v8, v1
	v_cndmask_b32_e64 v1, 0, 1, vcc
	v_add_u32_e32 v2, 0xfffffc10, v2
	v_or_b32_e32 v1, v9, v1
	v_lshl_or_b32 v8, v2, 12, v0
	v_cmp_gt_i32_e32 vcc, 1, v2
	v_cndmask_b32_e32 v1, v8, v1, vcc
	v_and_b32_e32 v8, 7, v1
	v_cmp_lt_i32_e32 vcc, 5, v8
	v_cmp_eq_u32_e64 s[0:1], 3, v8
	v_lshrrev_b32_e32 v1, 2, v1
	s_or_b64 vcc, s[0:1], vcc
	v_addc_co_u32_e32 v1, vcc, 0, v1, vcc
	v_cmp_gt_i32_e32 vcc, 31, v2
	v_cndmask_b32_e32 v8, v15, v1, vcc
	v_cmp_ne_u32_e32 vcc, 0, v0
	v_cndmask_b32_e64 v9, 0, 1, vcc
	v_lshl_or_b32 v9, v9, 9, v15
	v_cmp_eq_u32_e32 vcc, s10, v2
	v_cndmask_b32_e32 v8, v8, v9, vcc
	v_lshrrev_b32_e32 v9, 16, v12
	v_mul_f16_sdwa v2, v53, v9 dst_sel:DWORD dst_unused:UNUSED_PAD src0_sel:WORD_1 src1_sel:DWORD
	v_mad_u64_u32 v[0:1], s[0:1], s8, v54, 0
	v_fma_f16 v2, v53, v12, v2
	v_cvt_f32_f16_e32 v10, v2
	v_mad_u64_u32 v[1:2], s[0:1], s9, v54, v[1:2]
	v_lshrrev_b32_e32 v11, 16, v3
	v_cvt_f64_f32_e32 v[2:3], v10
	v_lshlrev_b64 v[0:1], 2, v[0:1]
	v_and_or_b32 v8, v11, s11, v8
	v_and_b32_e32 v7, 0xffff, v7
	v_mul_f64 v[2:3], v[2:3], s[2:3]
	v_add_co_u32_e32 v0, vcc, v16, v0
	v_lshl_or_b32 v7, v8, 16, v7
	v_addc_co_u32_e32 v1, vcc, v17, v1, vcc
	global_store_dword v[0:1], v7, off
	v_and_or_b32 v0, v3, s6, v2
	v_cmp_ne_u32_e32 vcc, 0, v0
	v_cndmask_b32_e64 v0, 0, 1, vcc
	v_lshrrev_b32_e32 v1, 8, v3
	v_and_or_b32 v2, v1, s7, v0
	v_bfe_u32 v1, v3, 20, 11
	v_sub_u32_e32 v7, 0x3f1, v1
	v_or_b32_e32 v0, 0x1000, v2
	v_med3_i32 v7, v7, 0, 13
	v_lshrrev_b32_e32 v8, v7, v0
	v_lshlrev_b32_e32 v7, v7, v8
	v_cmp_ne_u32_e32 vcc, v7, v0
	v_cndmask_b32_e64 v0, 0, 1, vcc
	v_or_b32_e32 v0, v8, v0
	v_mul_f16_sdwa v8, v53, v12 dst_sel:DWORD dst_unused:UNUSED_PAD src0_sel:WORD_1 src1_sel:DWORD
	v_fma_f16 v8, v53, v9, -v8
	v_add_u32_e32 v7, 0xfffffc10, v1
	v_cvt_f32_f16_e32 v8, v8
	v_lshl_or_b32 v1, v7, 12, v2
	v_cmp_gt_i32_e32 vcc, 1, v7
	v_cndmask_b32_e32 v0, v1, v0, vcc
	v_and_b32_e32 v1, 7, v0
	v_cmp_lt_i32_e32 vcc, 5, v1
	v_cmp_eq_u32_e64 s[0:1], 3, v1
	v_lshrrev_b32_e32 v9, 2, v0
	v_cvt_f64_f32_e32 v[0:1], v8
	s_or_b64 vcc, s[0:1], vcc
	v_addc_co_u32_e32 v8, vcc, 0, v9, vcc
	v_mul_f64 v[0:1], v[0:1], s[2:3]
	v_cmp_gt_i32_e32 vcc, 31, v7
	v_cndmask_b32_e32 v8, v15, v8, vcc
	v_cmp_ne_u32_e32 vcc, 0, v2
	v_cndmask_b32_e64 v2, 0, 1, vcc
	v_lshl_or_b32 v2, v2, 9, v15
	v_cmp_eq_u32_e32 vcc, s10, v7
	v_cndmask_b32_e32 v2, v8, v2, vcc
	v_and_or_b32 v0, v1, s6, v0
	v_lshrrev_b32_e32 v3, 16, v3
	v_cmp_ne_u32_e32 vcc, 0, v0
	v_and_or_b32 v7, v3, s11, v2
	v_cndmask_b32_e64 v0, 0, 1, vcc
	v_lshrrev_b32_e32 v2, 8, v1
	v_bfe_u32 v3, v1, 20, 11
	v_and_or_b32 v0, v2, s7, v0
	v_sub_u32_e32 v8, 0x3f1, v3
	v_or_b32_e32 v2, 0x1000, v0
	v_med3_i32 v8, v8, 0, 13
	v_lshrrev_b32_e32 v9, v8, v2
	v_lshlrev_b32_e32 v8, v8, v9
	v_cmp_ne_u32_e32 vcc, v8, v2
	v_cndmask_b32_e64 v2, 0, 1, vcc
	v_add_u32_e32 v3, 0xfffffc10, v3
	v_or_b32_e32 v2, v9, v2
	v_lshl_or_b32 v8, v3, 12, v0
	v_cmp_gt_i32_e32 vcc, 1, v3
	v_cndmask_b32_e32 v2, v8, v2, vcc
	v_and_b32_e32 v8, 7, v2
	v_cmp_lt_i32_e32 vcc, 5, v8
	v_cmp_eq_u32_e64 s[0:1], 3, v8
	v_lshrrev_b32_e32 v8, 16, v4
	v_lshrrev_b32_e32 v2, 2, v2
	s_or_b64 vcc, s[0:1], vcc
	v_mul_f16_sdwa v9, v51, v8 dst_sel:DWORD dst_unused:UNUSED_PAD src0_sel:WORD_1 src1_sel:DWORD
	v_addc_co_u32_e32 v2, vcc, 0, v2, vcc
	v_fma_f16 v9, v51, v4, v9
	v_cmp_gt_i32_e32 vcc, 31, v3
	v_cvt_f32_f16_e32 v9, v9
	v_cndmask_b32_e32 v2, v15, v2, vcc
	v_cmp_ne_u32_e32 vcc, 0, v0
	v_cndmask_b32_e64 v0, 0, 1, vcc
	v_lshl_or_b32 v0, v0, 9, v15
	v_cmp_eq_u32_e32 vcc, s10, v3
	v_cndmask_b32_e32 v0, v2, v0, vcc
	v_cvt_f64_f32_e32 v[2:3], v9
	v_lshrrev_b32_e32 v1, 16, v1
	v_and_or_b32 v9, v1, s11, v0
	v_and_b32_e32 v7, 0xffff, v7
	v_mul_f64 v[0:1], v[2:3], s[2:3]
	v_mov_b32_e32 v3, s12
	v_add_co_u32_e32 v2, vcc, s13, v5
	v_addc_co_u32_e32 v3, vcc, v6, v3, vcc
	v_lshl_or_b32 v7, v9, 16, v7
	global_store_dword v[2:3], v7, off
	v_and_or_b32 v0, v1, s6, v0
	v_cmp_ne_u32_e32 vcc, 0, v0
	v_cndmask_b32_e64 v0, 0, 1, vcc
	v_lshrrev_b32_e32 v5, 8, v1
	v_bfe_u32 v6, v1, 20, 11
	v_and_or_b32 v0, v5, s7, v0
	v_sub_u32_e32 v7, 0x3f1, v6
	v_or_b32_e32 v5, 0x1000, v0
	v_med3_i32 v7, v7, 0, 13
	v_lshrrev_b32_e32 v9, v7, v5
	v_lshlrev_b32_e32 v7, v7, v9
	v_mul_f16_sdwa v4, v51, v4 dst_sel:DWORD dst_unused:UNUSED_PAD src0_sel:WORD_1 src1_sel:DWORD
	v_cmp_ne_u32_e32 vcc, v7, v5
	v_fma_f16 v4, v51, v8, -v4
	v_cndmask_b32_e64 v5, 0, 1, vcc
	v_add_u32_e32 v6, 0xfffffc10, v6
	v_cvt_f32_f16_e32 v4, v4
	v_or_b32_e32 v5, v9, v5
	v_lshl_or_b32 v7, v6, 12, v0
	v_cmp_gt_i32_e32 vcc, 1, v6
	v_cndmask_b32_e32 v5, v7, v5, vcc
	v_and_b32_e32 v7, 7, v5
	v_cmp_lt_i32_e32 vcc, 5, v7
	v_cmp_eq_u32_e64 s[0:1], 3, v7
	v_lshrrev_b32_e32 v7, 2, v5
	v_cvt_f64_f32_e32 v[4:5], v4
	s_or_b64 vcc, s[0:1], vcc
	v_addc_co_u32_e32 v7, vcc, 0, v7, vcc
	v_mul_f64 v[4:5], v[4:5], s[2:3]
	v_cmp_gt_i32_e32 vcc, 31, v6
	v_cndmask_b32_e32 v7, v15, v7, vcc
	v_cmp_ne_u32_e32 vcc, 0, v0
	v_cndmask_b32_e64 v0, 0, 1, vcc
	v_lshl_or_b32 v0, v0, 9, v15
	v_cmp_eq_u32_e32 vcc, s10, v6
	v_cndmask_b32_e32 v0, v7, v0, vcc
	v_lshrrev_b32_e32 v1, 16, v1
	v_and_or_b32 v6, v1, s11, v0
	v_and_or_b32 v0, v5, s6, v4
	v_cmp_ne_u32_e32 vcc, 0, v0
	v_cndmask_b32_e64 v0, 0, 1, vcc
	v_lshrrev_b32_e32 v1, 8, v5
	v_bfe_u32 v4, v5, 20, 11
	v_and_or_b32 v0, v1, s7, v0
	v_sub_u32_e32 v7, 0x3f1, v4
	v_or_b32_e32 v1, 0x1000, v0
	v_med3_i32 v7, v7, 0, 13
	v_lshrrev_b32_e32 v8, v7, v1
	v_lshlrev_b32_e32 v7, v7, v8
	v_cmp_ne_u32_e32 vcc, v7, v1
	v_cndmask_b32_e64 v1, 0, 1, vcc
	v_add_u32_e32 v4, 0xfffffc10, v4
	v_or_b32_e32 v1, v8, v1
	v_lshl_or_b32 v7, v4, 12, v0
	v_cmp_gt_i32_e32 vcc, 1, v4
	v_cndmask_b32_e32 v1, v7, v1, vcc
	v_and_b32_e32 v7, 7, v1
	v_cmp_lt_i32_e32 vcc, 5, v7
	v_cmp_eq_u32_e64 s[0:1], 3, v7
	v_lshrrev_b32_e32 v7, 16, v14
	v_lshrrev_b32_e32 v1, 2, v1
	s_or_b64 vcc, s[0:1], vcc
	v_mul_f16_sdwa v8, v50, v7 dst_sel:DWORD dst_unused:UNUSED_PAD src0_sel:WORD_1 src1_sel:DWORD
	v_addc_co_u32_e32 v1, vcc, 0, v1, vcc
	v_fma_f16 v8, v50, v14, v8
	v_cmp_gt_i32_e32 vcc, 31, v4
	v_cvt_f32_f16_e32 v8, v8
	v_cndmask_b32_e32 v1, v15, v1, vcc
	v_cmp_ne_u32_e32 vcc, 0, v0
	v_cndmask_b32_e64 v0, 0, 1, vcc
	v_lshl_or_b32 v0, v0, 9, v15
	v_cmp_eq_u32_e32 vcc, s10, v4
	v_cndmask_b32_e32 v4, v1, v0, vcc
	v_cvt_f64_f32_e32 v[0:1], v8
	v_lshrrev_b32_e32 v5, 16, v5
	v_and_or_b32 v4, v5, s11, v4
	v_and_b32_e32 v5, 0xffff, v6
	v_mul_f64 v[0:1], v[0:1], s[2:3]
	v_lshl_or_b32 v4, v4, 16, v5
	v_mov_b32_e32 v5, s4
	v_add_co_u32_e32 v2, vcc, s5, v2
	v_addc_co_u32_e32 v3, vcc, v3, v5, vcc
	global_store_dword v[2:3], v4, off
	v_and_or_b32 v0, v1, s6, v0
	v_cmp_ne_u32_e32 vcc, 0, v0
	v_cndmask_b32_e64 v0, 0, 1, vcc
	v_lshrrev_b32_e32 v4, 8, v1
	v_bfe_u32 v5, v1, 20, 11
	v_and_or_b32 v0, v4, s7, v0
	v_sub_u32_e32 v6, 0x3f1, v5
	v_or_b32_e32 v4, 0x1000, v0
	v_med3_i32 v6, v6, 0, 13
	v_lshrrev_b32_e32 v8, v6, v4
	v_lshlrev_b32_e32 v6, v6, v8
	v_cmp_ne_u32_e32 vcc, v6, v4
	v_cndmask_b32_e64 v4, 0, 1, vcc
	v_or_b32_e32 v4, v8, v4
	v_mul_f16_sdwa v8, v50, v14 dst_sel:DWORD dst_unused:UNUSED_PAD src0_sel:WORD_1 src1_sel:DWORD
	v_fma_f16 v7, v50, v7, -v8
	v_add_u32_e32 v6, 0xfffffc10, v5
	v_cvt_f32_f16_e32 v7, v7
	v_lshl_or_b32 v5, v6, 12, v0
	v_cmp_gt_i32_e32 vcc, 1, v6
	v_cndmask_b32_e32 v4, v5, v4, vcc
	v_and_b32_e32 v5, 7, v4
	v_cmp_lt_i32_e32 vcc, 5, v5
	v_cmp_eq_u32_e64 s[0:1], 3, v5
	v_lshrrev_b32_e32 v8, 2, v4
	v_cvt_f64_f32_e32 v[4:5], v7
	s_or_b64 vcc, s[0:1], vcc
	v_addc_co_u32_e32 v7, vcc, 0, v8, vcc
	v_mul_f64 v[4:5], v[4:5], s[2:3]
	v_cmp_gt_i32_e32 vcc, 31, v6
	v_cndmask_b32_e32 v7, v15, v7, vcc
	v_cmp_ne_u32_e32 vcc, 0, v0
	v_cndmask_b32_e64 v0, 0, 1, vcc
	v_lshl_or_b32 v0, v0, 9, v15
	v_cmp_eq_u32_e32 vcc, s10, v6
	v_cndmask_b32_e32 v0, v7, v0, vcc
	v_lshrrev_b32_e32 v1, 16, v1
	v_and_or_b32 v0, v1, s11, v0
	v_and_or_b32 v1, v5, s6, v4
	v_cmp_ne_u32_e32 vcc, 0, v1
	v_cndmask_b32_e64 v1, 0, 1, vcc
	v_lshrrev_b32_e32 v4, 8, v5
	v_bfe_u32 v6, v5, 20, 11
	v_and_or_b32 v1, v4, s7, v1
	v_sub_u32_e32 v7, 0x3f1, v6
	v_or_b32_e32 v4, 0x1000, v1
	v_med3_i32 v7, v7, 0, 13
	v_lshrrev_b32_e32 v8, v7, v4
	v_lshlrev_b32_e32 v7, v7, v8
	v_cmp_ne_u32_e32 vcc, v7, v4
	v_cndmask_b32_e64 v4, 0, 1, vcc
	v_add_u32_e32 v6, 0xfffffc10, v6
	v_or_b32_e32 v4, v8, v4
	v_lshl_or_b32 v7, v6, 12, v1
	v_cmp_gt_i32_e32 vcc, 1, v6
	v_cndmask_b32_e32 v4, v7, v4, vcc
	v_and_b32_e32 v7, 7, v4
	v_cmp_lt_i32_e32 vcc, 5, v7
	v_cmp_eq_u32_e64 s[0:1], 3, v7
	v_lshrrev_b32_e32 v4, 2, v4
	s_or_b64 vcc, s[0:1], vcc
	v_addc_co_u32_e32 v4, vcc, 0, v4, vcc
	v_cmp_gt_i32_e32 vcc, 31, v6
	v_cndmask_b32_e32 v4, v15, v4, vcc
	v_cmp_ne_u32_e32 vcc, 0, v1
	v_cndmask_b32_e64 v1, 0, 1, vcc
	v_lshl_or_b32 v1, v1, 9, v15
	v_cmp_eq_u32_e32 vcc, s10, v6
	v_cndmask_b32_e32 v1, v4, v1, vcc
	v_lshrrev_b32_e32 v4, 16, v5
	v_and_or_b32 v1, v4, s11, v1
	v_and_b32_e32 v0, 0xffff, v0
	v_lshl_or_b32 v4, v1, 16, v0
	v_mov_b32_e32 v1, s4
	v_add_co_u32_e32 v0, vcc, s5, v2
	v_addc_co_u32_e32 v1, vcc, v3, v1, vcc
	global_store_dword v[0:1], v4, off
.LBB0_2:
	s_endpgm
	.section	.rodata,"a",@progbits
	.p2align	6, 0x0
	.amdhsa_kernel bluestein_single_back_len2880_dim1_half_op_CI_CI
		.amdhsa_group_segment_fixed_size 11520
		.amdhsa_private_segment_fixed_size 0
		.amdhsa_kernarg_size 104
		.amdhsa_user_sgpr_count 6
		.amdhsa_user_sgpr_private_segment_buffer 1
		.amdhsa_user_sgpr_dispatch_ptr 0
		.amdhsa_user_sgpr_queue_ptr 0
		.amdhsa_user_sgpr_kernarg_segment_ptr 1
		.amdhsa_user_sgpr_dispatch_id 0
		.amdhsa_user_sgpr_flat_scratch_init 0
		.amdhsa_user_sgpr_private_segment_size 0
		.amdhsa_uses_dynamic_stack 0
		.amdhsa_system_sgpr_private_segment_wavefront_offset 0
		.amdhsa_system_sgpr_workgroup_id_x 1
		.amdhsa_system_sgpr_workgroup_id_y 0
		.amdhsa_system_sgpr_workgroup_id_z 0
		.amdhsa_system_sgpr_workgroup_info 0
		.amdhsa_system_vgpr_workitem_id 0
		.amdhsa_next_free_vgpr 244
		.amdhsa_next_free_sgpr 24
		.amdhsa_reserve_vcc 1
		.amdhsa_reserve_flat_scratch 0
		.amdhsa_float_round_mode_32 0
		.amdhsa_float_round_mode_16_64 0
		.amdhsa_float_denorm_mode_32 3
		.amdhsa_float_denorm_mode_16_64 3
		.amdhsa_dx10_clamp 1
		.amdhsa_ieee_mode 1
		.amdhsa_fp16_overflow 0
		.amdhsa_exception_fp_ieee_invalid_op 0
		.amdhsa_exception_fp_denorm_src 0
		.amdhsa_exception_fp_ieee_div_zero 0
		.amdhsa_exception_fp_ieee_overflow 0
		.amdhsa_exception_fp_ieee_underflow 0
		.amdhsa_exception_fp_ieee_inexact 0
		.amdhsa_exception_int_div_zero 0
	.end_amdhsa_kernel
	.text
.Lfunc_end0:
	.size	bluestein_single_back_len2880_dim1_half_op_CI_CI, .Lfunc_end0-bluestein_single_back_len2880_dim1_half_op_CI_CI
                                        ; -- End function
	.section	.AMDGPU.csdata,"",@progbits
; Kernel info:
; codeLenInByte = 48780
; NumSgprs: 28
; NumVgprs: 244
; ScratchSize: 0
; MemoryBound: 0
; FloatMode: 240
; IeeeMode: 1
; LDSByteSize: 11520 bytes/workgroup (compile time only)
; SGPRBlocks: 3
; VGPRBlocks: 60
; NumSGPRsForWavesPerEU: 28
; NumVGPRsForWavesPerEU: 244
; Occupancy: 1
; WaveLimiterHint : 1
; COMPUTE_PGM_RSRC2:SCRATCH_EN: 0
; COMPUTE_PGM_RSRC2:USER_SGPR: 6
; COMPUTE_PGM_RSRC2:TRAP_HANDLER: 0
; COMPUTE_PGM_RSRC2:TGID_X_EN: 1
; COMPUTE_PGM_RSRC2:TGID_Y_EN: 0
; COMPUTE_PGM_RSRC2:TGID_Z_EN: 0
; COMPUTE_PGM_RSRC2:TIDIG_COMP_CNT: 0
	.type	__hip_cuid_cf304d3aa3b027ba,@object ; @__hip_cuid_cf304d3aa3b027ba
	.section	.bss,"aw",@nobits
	.globl	__hip_cuid_cf304d3aa3b027ba
__hip_cuid_cf304d3aa3b027ba:
	.byte	0                               ; 0x0
	.size	__hip_cuid_cf304d3aa3b027ba, 1

	.ident	"AMD clang version 19.0.0git (https://github.com/RadeonOpenCompute/llvm-project roc-6.4.0 25133 c7fe45cf4b819c5991fe208aaa96edf142730f1d)"
	.section	".note.GNU-stack","",@progbits
	.addrsig
	.addrsig_sym __hip_cuid_cf304d3aa3b027ba
	.amdgpu_metadata
---
amdhsa.kernels:
  - .args:
      - .actual_access:  read_only
        .address_space:  global
        .offset:         0
        .size:           8
        .value_kind:     global_buffer
      - .actual_access:  read_only
        .address_space:  global
        .offset:         8
        .size:           8
        .value_kind:     global_buffer
      - .actual_access:  read_only
        .address_space:  global
        .offset:         16
        .size:           8
        .value_kind:     global_buffer
      - .actual_access:  read_only
        .address_space:  global
        .offset:         24
        .size:           8
        .value_kind:     global_buffer
      - .actual_access:  read_only
        .address_space:  global
        .offset:         32
        .size:           8
        .value_kind:     global_buffer
      - .offset:         40
        .size:           8
        .value_kind:     by_value
      - .address_space:  global
        .offset:         48
        .size:           8
        .value_kind:     global_buffer
      - .address_space:  global
        .offset:         56
        .size:           8
        .value_kind:     global_buffer
      - .address_space:  global
        .offset:         64
        .size:           8
        .value_kind:     global_buffer
      - .address_space:  global
        .offset:         72
        .size:           8
        .value_kind:     global_buffer
      - .offset:         80
        .size:           4
        .value_kind:     by_value
      - .address_space:  global
        .offset:         88
        .size:           8
        .value_kind:     global_buffer
      - .address_space:  global
        .offset:         96
        .size:           8
        .value_kind:     global_buffer
    .group_segment_fixed_size: 11520
    .kernarg_segment_align: 8
    .kernarg_segment_size: 104
    .language:       OpenCL C
    .language_version:
      - 2
      - 0
    .max_flat_workgroup_size: 96
    .name:           bluestein_single_back_len2880_dim1_half_op_CI_CI
    .private_segment_fixed_size: 0
    .sgpr_count:     28
    .sgpr_spill_count: 0
    .symbol:         bluestein_single_back_len2880_dim1_half_op_CI_CI.kd
    .uniform_work_group_size: 1
    .uses_dynamic_stack: false
    .vgpr_count:     244
    .vgpr_spill_count: 0
    .wavefront_size: 64
amdhsa.target:   amdgcn-amd-amdhsa--gfx906
amdhsa.version:
  - 1
  - 2
...

	.end_amdgpu_metadata
